;; amdgpu-corpus repo=ROCm/rocFFT kind=compiled arch=gfx1030 opt=O3
	.text
	.amdgcn_target "amdgcn-amd-amdhsa--gfx1030"
	.amdhsa_code_object_version 6
	.protected	fft_rtc_fwd_len1521_factors_13_3_3_13_wgs_117_tpt_117_halfLds_dp_op_CI_CI_unitstride_sbrr_dirReg ; -- Begin function fft_rtc_fwd_len1521_factors_13_3_3_13_wgs_117_tpt_117_halfLds_dp_op_CI_CI_unitstride_sbrr_dirReg
	.globl	fft_rtc_fwd_len1521_factors_13_3_3_13_wgs_117_tpt_117_halfLds_dp_op_CI_CI_unitstride_sbrr_dirReg
	.p2align	8
	.type	fft_rtc_fwd_len1521_factors_13_3_3_13_wgs_117_tpt_117_halfLds_dp_op_CI_CI_unitstride_sbrr_dirReg,@function
fft_rtc_fwd_len1521_factors_13_3_3_13_wgs_117_tpt_117_halfLds_dp_op_CI_CI_unitstride_sbrr_dirReg: ; @fft_rtc_fwd_len1521_factors_13_3_3_13_wgs_117_tpt_117_halfLds_dp_op_CI_CI_unitstride_sbrr_dirReg
; %bb.0:
	s_clause 0x2
	s_load_dwordx4 s[12:15], s[4:5], 0x0
	s_load_dwordx4 s[8:11], s[4:5], 0x58
	;; [unrolled: 1-line block ×3, first 2 shown]
	v_mul_u32_u24_e32 v2, 0x231, v0
	v_mov_b32_e32 v1, 0
	v_mov_b32_e32 v4, 0
	;; [unrolled: 1-line block ×3, first 2 shown]
	v_add_nc_u32_sdwa v6, s6, v2 dst_sel:DWORD dst_unused:UNUSED_PAD src0_sel:DWORD src1_sel:WORD_1
	v_mov_b32_e32 v7, v1
	s_waitcnt lgkmcnt(0)
	v_cmp_lt_u64_e64 s0, s[14:15], 2
	s_and_b32 vcc_lo, exec_lo, s0
	s_cbranch_vccnz .LBB0_8
; %bb.1:
	s_load_dwordx2 s[0:1], s[4:5], 0x10
	v_mov_b32_e32 v4, 0
	v_mov_b32_e32 v5, 0
	s_add_u32 s2, s18, 8
	s_addc_u32 s3, s19, 0
	s_add_u32 s6, s16, 8
	s_addc_u32 s7, s17, 0
	v_mov_b32_e32 v77, v5
	v_mov_b32_e32 v76, v4
	s_mov_b64 s[22:23], 1
	s_waitcnt lgkmcnt(0)
	s_add_u32 s20, s0, 8
	s_addc_u32 s21, s1, 0
.LBB0_2:                                ; =>This Inner Loop Header: Depth=1
	s_load_dwordx2 s[24:25], s[20:21], 0x0
                                        ; implicit-def: $vgpr80_vgpr81
	s_mov_b32 s0, exec_lo
	s_waitcnt lgkmcnt(0)
	v_or_b32_e32 v2, s25, v7
	v_cmpx_ne_u64_e32 0, v[1:2]
	s_xor_b32 s1, exec_lo, s0
	s_cbranch_execz .LBB0_4
; %bb.3:                                ;   in Loop: Header=BB0_2 Depth=1
	v_cvt_f32_u32_e32 v2, s24
	v_cvt_f32_u32_e32 v3, s25
	s_sub_u32 s0, 0, s24
	s_subb_u32 s26, 0, s25
	v_fmac_f32_e32 v2, 0x4f800000, v3
	v_rcp_f32_e32 v2, v2
	v_mul_f32_e32 v2, 0x5f7ffffc, v2
	v_mul_f32_e32 v3, 0x2f800000, v2
	v_trunc_f32_e32 v3, v3
	v_fmac_f32_e32 v2, 0xcf800000, v3
	v_cvt_u32_f32_e32 v3, v3
	v_cvt_u32_f32_e32 v2, v2
	v_mul_lo_u32 v8, s0, v3
	v_mul_hi_u32 v9, s0, v2
	v_mul_lo_u32 v10, s26, v2
	v_add_nc_u32_e32 v8, v9, v8
	v_mul_lo_u32 v9, s0, v2
	v_add_nc_u32_e32 v8, v8, v10
	v_mul_hi_u32 v10, v2, v9
	v_mul_lo_u32 v11, v2, v8
	v_mul_hi_u32 v12, v2, v8
	v_mul_hi_u32 v13, v3, v9
	v_mul_lo_u32 v9, v3, v9
	v_mul_hi_u32 v14, v3, v8
	v_mul_lo_u32 v8, v3, v8
	v_add_co_u32 v10, vcc_lo, v10, v11
	v_add_co_ci_u32_e32 v11, vcc_lo, 0, v12, vcc_lo
	v_add_co_u32 v9, vcc_lo, v10, v9
	v_add_co_ci_u32_e32 v9, vcc_lo, v11, v13, vcc_lo
	v_add_co_ci_u32_e32 v10, vcc_lo, 0, v14, vcc_lo
	v_add_co_u32 v8, vcc_lo, v9, v8
	v_add_co_ci_u32_e32 v9, vcc_lo, 0, v10, vcc_lo
	v_add_co_u32 v2, vcc_lo, v2, v8
	v_add_co_ci_u32_e32 v3, vcc_lo, v3, v9, vcc_lo
	v_mul_hi_u32 v8, s0, v2
	v_mul_lo_u32 v10, s26, v2
	v_mul_lo_u32 v9, s0, v3
	v_add_nc_u32_e32 v8, v8, v9
	v_mul_lo_u32 v9, s0, v2
	v_add_nc_u32_e32 v8, v8, v10
	v_mul_hi_u32 v10, v2, v9
	v_mul_lo_u32 v11, v2, v8
	v_mul_hi_u32 v12, v2, v8
	v_mul_hi_u32 v13, v3, v9
	v_mul_lo_u32 v9, v3, v9
	v_mul_hi_u32 v14, v3, v8
	v_mul_lo_u32 v8, v3, v8
	v_add_co_u32 v10, vcc_lo, v10, v11
	v_add_co_ci_u32_e32 v11, vcc_lo, 0, v12, vcc_lo
	v_add_co_u32 v9, vcc_lo, v10, v9
	v_add_co_ci_u32_e32 v9, vcc_lo, v11, v13, vcc_lo
	v_add_co_ci_u32_e32 v10, vcc_lo, 0, v14, vcc_lo
	v_add_co_u32 v8, vcc_lo, v9, v8
	v_add_co_ci_u32_e32 v9, vcc_lo, 0, v10, vcc_lo
	v_add_co_u32 v8, vcc_lo, v2, v8
	v_add_co_ci_u32_e32 v10, vcc_lo, v3, v9, vcc_lo
	v_mul_hi_u32 v12, v6, v8
	v_mad_u64_u32 v[8:9], null, v7, v8, 0
	v_mad_u64_u32 v[2:3], null, v6, v10, 0
	;; [unrolled: 1-line block ×3, first 2 shown]
	v_add_co_u32 v2, vcc_lo, v12, v2
	v_add_co_ci_u32_e32 v3, vcc_lo, 0, v3, vcc_lo
	v_add_co_u32 v2, vcc_lo, v2, v8
	v_add_co_ci_u32_e32 v2, vcc_lo, v3, v9, vcc_lo
	v_add_co_ci_u32_e32 v3, vcc_lo, 0, v11, vcc_lo
	v_add_co_u32 v8, vcc_lo, v2, v10
	v_add_co_ci_u32_e32 v9, vcc_lo, 0, v3, vcc_lo
	v_mul_lo_u32 v10, s25, v8
	v_mad_u64_u32 v[2:3], null, s24, v8, 0
	v_mul_lo_u32 v11, s24, v9
	v_sub_co_u32 v2, vcc_lo, v6, v2
	v_add3_u32 v3, v3, v11, v10
	v_sub_nc_u32_e32 v10, v7, v3
	v_subrev_co_ci_u32_e64 v10, s0, s25, v10, vcc_lo
	v_add_co_u32 v11, s0, v8, 2
	v_add_co_ci_u32_e64 v12, s0, 0, v9, s0
	v_sub_co_u32 v13, s0, v2, s24
	v_sub_co_ci_u32_e32 v3, vcc_lo, v7, v3, vcc_lo
	v_subrev_co_ci_u32_e64 v10, s0, 0, v10, s0
	v_cmp_le_u32_e32 vcc_lo, s24, v13
	v_cmp_eq_u32_e64 s0, s25, v3
	v_cndmask_b32_e64 v13, 0, -1, vcc_lo
	v_cmp_le_u32_e32 vcc_lo, s25, v10
	v_cndmask_b32_e64 v14, 0, -1, vcc_lo
	v_cmp_le_u32_e32 vcc_lo, s24, v2
	;; [unrolled: 2-line block ×3, first 2 shown]
	v_cndmask_b32_e64 v15, 0, -1, vcc_lo
	v_cmp_eq_u32_e32 vcc_lo, s25, v10
	v_cndmask_b32_e64 v2, v15, v2, s0
	v_cndmask_b32_e32 v10, v14, v13, vcc_lo
	v_add_co_u32 v13, vcc_lo, v8, 1
	v_add_co_ci_u32_e32 v14, vcc_lo, 0, v9, vcc_lo
	v_cmp_ne_u32_e32 vcc_lo, 0, v10
	v_cndmask_b32_e32 v3, v14, v12, vcc_lo
	v_cndmask_b32_e32 v10, v13, v11, vcc_lo
	v_cmp_ne_u32_e32 vcc_lo, 0, v2
	v_cndmask_b32_e32 v81, v9, v3, vcc_lo
	v_cndmask_b32_e32 v80, v8, v10, vcc_lo
.LBB0_4:                                ;   in Loop: Header=BB0_2 Depth=1
	s_andn2_saveexec_b32 s0, s1
	s_cbranch_execz .LBB0_6
; %bb.5:                                ;   in Loop: Header=BB0_2 Depth=1
	v_cvt_f32_u32_e32 v2, s24
	s_sub_i32 s1, 0, s24
	v_mov_b32_e32 v81, v1
	v_rcp_iflag_f32_e32 v2, v2
	v_mul_f32_e32 v2, 0x4f7ffffe, v2
	v_cvt_u32_f32_e32 v2, v2
	v_mul_lo_u32 v3, s1, v2
	v_mul_hi_u32 v3, v2, v3
	v_add_nc_u32_e32 v2, v2, v3
	v_mul_hi_u32 v2, v6, v2
	v_mul_lo_u32 v3, v2, s24
	v_add_nc_u32_e32 v8, 1, v2
	v_sub_nc_u32_e32 v3, v6, v3
	v_subrev_nc_u32_e32 v9, s24, v3
	v_cmp_le_u32_e32 vcc_lo, s24, v3
	v_cndmask_b32_e32 v3, v3, v9, vcc_lo
	v_cndmask_b32_e32 v2, v2, v8, vcc_lo
	v_cmp_le_u32_e32 vcc_lo, s24, v3
	v_add_nc_u32_e32 v8, 1, v2
	v_cndmask_b32_e32 v80, v2, v8, vcc_lo
.LBB0_6:                                ;   in Loop: Header=BB0_2 Depth=1
	s_or_b32 exec_lo, exec_lo, s0
	v_mul_lo_u32 v8, v81, s24
	v_mul_lo_u32 v9, v80, s25
	s_load_dwordx2 s[0:1], s[6:7], 0x0
	v_mad_u64_u32 v[2:3], null, v80, s24, 0
	s_load_dwordx2 s[24:25], s[2:3], 0x0
	s_add_u32 s22, s22, 1
	s_addc_u32 s23, s23, 0
	s_add_u32 s2, s2, 8
	s_addc_u32 s3, s3, 0
	s_add_u32 s6, s6, 8
	v_add3_u32 v3, v3, v9, v8
	v_sub_co_u32 v2, vcc_lo, v6, v2
	s_addc_u32 s7, s7, 0
	s_add_u32 s20, s20, 8
	v_sub_co_ci_u32_e32 v3, vcc_lo, v7, v3, vcc_lo
	s_addc_u32 s21, s21, 0
	s_waitcnt lgkmcnt(0)
	v_mul_lo_u32 v6, s0, v3
	v_mul_lo_u32 v7, s1, v2
	v_mad_u64_u32 v[4:5], null, s0, v2, v[4:5]
	v_mul_lo_u32 v3, s24, v3
	v_mul_lo_u32 v8, s25, v2
	v_mad_u64_u32 v[76:77], null, s24, v2, v[76:77]
	v_cmp_ge_u64_e64 s0, s[22:23], s[14:15]
	v_add3_u32 v5, v7, v5, v6
	v_add3_u32 v77, v8, v77, v3
	s_and_b32 vcc_lo, exec_lo, s0
	s_cbranch_vccnz .LBB0_9
; %bb.7:                                ;   in Loop: Header=BB0_2 Depth=1
	v_mov_b32_e32 v6, v80
	v_mov_b32_e32 v7, v81
	s_branch .LBB0_2
.LBB0_8:
	v_mov_b32_e32 v77, v5
	v_mov_b32_e32 v81, v7
	;; [unrolled: 1-line block ×4, first 2 shown]
.LBB0_9:
	s_load_dwordx2 s[0:1], s[4:5], 0x28
	v_mul_hi_u32 v1, 0x2302303, v0
	s_lshl_b64 s[4:5], s[14:15], 3
                                        ; implicit-def: $sgpr6_sgpr7
                                        ; implicit-def: $vgpr82
	s_add_u32 s2, s18, s4
	s_addc_u32 s3, s19, s5
	s_waitcnt lgkmcnt(0)
	v_cmp_gt_u64_e32 vcc_lo, s[0:1], v[80:81]
	v_cmp_le_u64_e64 s0, s[0:1], v[80:81]
	s_and_saveexec_b32 s1, s0
	s_xor_b32 s0, exec_lo, s1
; %bb.10:
	v_mul_u32_u24_e32 v1, 0x75, v1
	s_mov_b64 s[6:7], 0
                                        ; implicit-def: $vgpr4_vgpr5
	v_sub_nc_u32_e32 v82, v0, v1
                                        ; implicit-def: $vgpr1
                                        ; implicit-def: $vgpr0
; %bb.11:
	s_or_saveexec_b32 s1, s0
	v_mov_b32_e32 v79, s7
	v_mov_b32_e32 v78, s6
                                        ; implicit-def: $vgpr6_vgpr7
                                        ; implicit-def: $vgpr10_vgpr11
                                        ; implicit-def: $vgpr14_vgpr15
                                        ; implicit-def: $vgpr18_vgpr19
                                        ; implicit-def: $vgpr22_vgpr23
                                        ; implicit-def: $vgpr26_vgpr27
                                        ; implicit-def: $vgpr34_vgpr35
                                        ; implicit-def: $vgpr30_vgpr31
                                        ; implicit-def: $vgpr38_vgpr39
                                        ; implicit-def: $vgpr42_vgpr43
                                        ; implicit-def: $vgpr50_vgpr51
                                        ; implicit-def: $vgpr46_vgpr47
                                        ; implicit-def: $vgpr2_vgpr3
	s_xor_b32 exec_lo, exec_lo, s1
	s_cbranch_execz .LBB0_13
; %bb.12:
	s_add_u32 s4, s16, s4
	s_addc_u32 s5, s17, s5
	v_mov_b32_e32 v83, 0
	s_load_dwordx2 s[4:5], s[4:5], 0x0
	s_waitcnt lgkmcnt(0)
	v_mul_lo_u32 v6, s5, v80
	v_mul_lo_u32 v7, s4, v81
	v_mad_u64_u32 v[2:3], null, s4, v80, 0
	v_add3_u32 v3, v3, v7, v6
	v_mul_u32_u24_e32 v6, 0x75, v1
	v_lshlrev_b64 v[1:2], 4, v[2:3]
	v_lshlrev_b64 v[3:4], 4, v[4:5]
	v_sub_nc_u32_e32 v82, v0, v6
	v_add_co_u32 v0, s0, s8, v1
	v_add_co_ci_u32_e64 v1, s0, s9, v2, s0
	v_lshlrev_b32_e32 v2, 4, v82
	v_add_co_u32 v0, s0, v0, v3
	v_add_co_ci_u32_e64 v1, s0, v1, v4, s0
	v_mov_b32_e32 v78, v82
	v_add_co_u32 v4, s0, v0, v2
	v_add_co_ci_u32_e64 v5, s0, 0, v1, s0
	v_mov_b32_e32 v79, v83
	v_add_co_u32 v6, s0, 0x800, v4
	v_add_co_ci_u32_e64 v7, s0, 0, v5, s0
	v_add_co_u32 v8, s0, 0x1000, v4
	v_add_co_ci_u32_e64 v9, s0, 0, v5, s0
	;; [unrolled: 2-line block ×8, first 2 shown]
	s_clause 0x5
	global_load_dwordx4 v[0:3], v[4:5], off
	global_load_dwordx4 v[44:47], v[4:5], off offset:1872
	global_load_dwordx4 v[48:51], v[6:7], off offset:1696
	;; [unrolled: 1-line block ×5, first 2 shown]
	v_add_co_u32 v6, s0, 0x4800, v4
	v_add_co_ci_u32_e64 v7, s0, 0, v5, s0
	v_add_co_u32 v4, s0, 0x5000, v4
	v_add_co_ci_u32_e64 v5, s0, 0, v5, s0
	s_clause 0x6
	global_load_dwordx4 v[32:35], v[14:15], off offset:992
	global_load_dwordx4 v[24:27], v[16:17], off offset:816
	;; [unrolled: 1-line block ×7, first 2 shown]
.LBB0_13:
	s_or_b32 exec_lo, exec_lo, s1
	s_waitcnt vmcnt(11)
	v_add_f64 v[56:57], v[44:45], v[0:1]
	s_waitcnt vmcnt(0)
	v_add_f64 v[54:55], v[4:5], v[44:45]
	s_mov_b32 s4, 0x1ea71119
	s_mov_b32 s8, 0xebaa3ed8
	;; [unrolled: 1-line block ×4, first 2 shown]
	v_add_f64 v[52:53], v[46:47], -v[6:7]
	v_add_f64 v[58:59], v[8:9], v[48:49]
	s_mov_b32 s6, 0x42a4c3d2
	s_mov_b32 s14, 0xb2365da1
	;; [unrolled: 1-line block ×8, first 2 shown]
	v_add_f64 v[60:61], v[50:51], -v[10:11]
	v_add_f64 v[66:67], v[12:13], v[40:41]
	s_mov_b32 s16, 0xd0032e0c
	s_mov_b32 s34, 0x2ef20147
	;; [unrolled: 1-line block ×4, first 2 shown]
	v_add_f64 v[56:57], v[48:49], v[56:57]
	v_mul_f64 v[62:63], v[54:55], s[4:5]
	v_mul_f64 v[64:65], v[54:55], s[8:9]
	;; [unrolled: 1-line block ×3, first 2 shown]
	s_mov_b32 s35, 0x3fedeba7
	s_mov_b32 s29, 0x3fcea1e5
	v_mul_f64 v[107:108], v[54:55], s[16:17]
	v_mul_f64 v[83:84], v[58:59], s[14:15]
	;; [unrolled: 1-line block ×3, first 2 shown]
	v_add_f64 v[68:69], v[42:43], -v[14:15]
	v_add_f64 v[70:71], v[16:17], v[36:37]
	s_mov_b32 s18, 0xe00740e9
	v_mul_f64 v[113:114], v[58:59], s[16:17]
	v_mul_f64 v[123:124], v[54:55], s[20:21]
	s_mov_b32 s19, 0x3fec55a7
	s_mov_b32 s36, 0x24c2f84
	v_mul_f64 v[54:55], v[54:55], s[18:19]
	v_mul_f64 v[99:100], v[66:67], s[20:21]
	s_mov_b32 s37, 0x3fe5384d
	s_mov_b32 s27, 0xbfe5384d
	;; [unrolled: 1-line block ×4, first 2 shown]
	v_add_f64 v[56:57], v[40:41], v[56:57]
	v_fma_f64 v[87:88], v[52:53], s[6:7], v[62:63]
	v_fma_f64 v[89:90], v[52:53], s[22:23], v[64:65]
	;; [unrolled: 1-line block ×3, first 2 shown]
	s_mov_b32 s40, s28
	s_mov_b32 s25, 0xbfedeba7
	;; [unrolled: 1-line block ×3, first 2 shown]
	v_fma_f64 v[109:110], v[60:61], s[34:35], v[83:84]
	v_fma_f64 v[111:112], v[60:61], s[28:29], v[85:86]
	v_mul_f64 v[127:128], v[58:59], s[8:9]
	v_fma_f64 v[147:148], v[52:53], s[36:37], v[107:108]
	v_add_f64 v[72:73], v[38:39], -v[18:19]
	s_mov_b32 s30, 0x4267c47c
	s_mov_b32 s39, 0xbfefc445
	;; [unrolled: 1-line block ×5, first 2 shown]
	v_mul_f64 v[103:104], v[70:71], s[16:17]
	v_mul_f64 v[139:140], v[58:59], s[18:19]
	v_fma_f64 v[143:144], v[68:69], s[28:29], v[99:100]
	v_fma_f64 v[149:150], v[52:53], s[28:29], v[123:124]
	;; [unrolled: 1-line block ×3, first 2 shown]
	v_add_f64 v[56:57], v[36:37], v[56:57]
	v_add_f64 v[87:88], v[0:1], v[87:88]
	;; [unrolled: 1-line block ×3, first 2 shown]
	s_mov_b32 s31, 0x3fddbe06
	s_mov_b32 s45, 0xbfddbe06
	s_mov_b32 s44, s30
	v_fma_f64 v[93:94], v[52:53], s[24:25], v[93:94]
	v_fma_f64 v[107:108], v[52:53], s[26:27], v[107:108]
	;; [unrolled: 1-line block ×4, first 2 shown]
	v_mul_f64 v[58:59], v[58:59], s[4:5]
	v_fma_f64 v[163:164], v[52:53], s[30:31], v[54:55]
	v_fma_f64 v[52:53], v[52:53], s[44:45], v[54:55]
	v_mul_f64 v[101:102], v[66:67], s[14:15]
	v_mul_f64 v[129:130], v[66:67], s[18:19]
	;; [unrolled: 1-line block ×3, first 2 shown]
	v_fma_f64 v[159:160], v[60:61], s[38:39], v[127:128]
	v_add_f64 v[147:148], v[0:1], v[147:148]
	v_mul_f64 v[141:142], v[66:67], s[16:17]
	v_fma_f64 v[151:152], v[72:73], s[26:27], v[103:104]
	v_fma_f64 v[127:128], v[60:61], s[22:23], v[127:128]
	v_add_f64 v[123:124], v[0:1], v[123:124]
	v_add_f64 v[56:57], v[28:29], v[56:57]
	;; [unrolled: 1-line block ×4, first 2 shown]
	v_fma_f64 v[109:110], v[60:61], s[26:27], v[113:114]
	v_add_f64 v[111:112], v[0:1], v[115:116]
	v_fma_f64 v[113:114], v[60:61], s[36:37], v[113:114]
	v_add_f64 v[93:94], v[0:1], v[93:94]
	v_add_f64 v[107:108], v[0:1], v[107:108]
	v_fma_f64 v[83:84], v[60:61], s[24:25], v[83:84]
	v_fma_f64 v[85:86], v[60:61], s[40:41], v[85:86]
	v_add_f64 v[62:63], v[0:1], v[62:63]
	v_add_f64 v[64:65], v[0:1], v[64:65]
	v_mul_f64 v[66:67], v[66:67], s[8:9]
	v_add_f64 v[163:164], v[0:1], v[163:164]
	v_add_f64 v[74:75], v[20:21], v[28:29]
	v_mul_f64 v[105:106], v[70:71], s[18:19]
	v_fma_f64 v[145:146], v[68:69], s[24:25], v[101:102]
	v_mul_f64 v[133:134], v[70:71], s[8:9]
	v_mul_f64 v[135:136], v[70:71], s[20:21]
	v_fma_f64 v[161:162], v[68:69], s[44:45], v[129:130]
	v_add_f64 v[147:148], v[159:160], v[147:148]
	v_mul_f64 v[115:116], v[70:71], s[4:5]
	v_add_f64 v[54:55], v[32:33], v[56:57]
	v_add_f64 v[87:88], v[143:144], v[87:88]
	v_add_f64 v[56:57], v[0:1], v[149:150]
	v_fma_f64 v[149:150], v[60:61], s[6:7], v[58:59]
	v_add_f64 v[109:110], v[109:110], v[111:112]
	v_fma_f64 v[111:112], v[60:61], s[44:45], v[139:140]
	v_fma_f64 v[139:140], v[60:61], s[30:31], v[139:140]
	;; [unrolled: 1-line block ×3, first 2 shown]
	v_add_f64 v[0:1], v[0:1], v[52:53]
	v_fma_f64 v[143:144], v[68:69], s[6:7], v[131:132]
	v_add_f64 v[93:94], v[113:114], v[93:94]
	v_add_f64 v[107:108], v[127:128], v[107:108]
	v_fma_f64 v[99:100], v[68:69], s[40:41], v[99:100]
	v_fma_f64 v[101:102], v[68:69], s[34:35], v[101:102]
	v_add_f64 v[62:63], v[83:84], v[62:63]
	v_add_f64 v[64:65], v[85:86], v[64:65]
	v_fma_f64 v[83:84], v[68:69], s[22:23], v[66:67]
	v_mul_f64 v[70:71], v[70:71], s[14:15]
	v_fma_f64 v[66:67], v[68:69], s[38:39], v[66:67]
	v_add_f64 v[91:92], v[30:31], -v[22:23]
	v_add_f64 v[95:96], v[24:25], v[32:33]
	v_mul_f64 v[117:118], v[74:75], s[8:9]
	v_add_f64 v[52:53], v[24:25], v[54:55]
	v_add_f64 v[87:88], v[151:152], v[87:88]
	v_fma_f64 v[151:152], v[68:69], s[36:37], v[141:142]
	v_fma_f64 v[141:142], v[68:69], s[26:27], v[141:142]
	v_add_f64 v[85:86], v[149:150], v[163:164]
	v_add_f64 v[54:55], v[111:112], v[56:57]
	;; [unrolled: 1-line block ×3, first 2 shown]
	v_fma_f64 v[111:112], v[68:69], s[30:31], v[129:130]
	v_fma_f64 v[123:124], v[68:69], s[42:43], v[131:132]
	v_add_f64 v[0:1], v[58:59], v[0:1]
	v_mul_f64 v[119:120], v[74:75], s[4:5]
	v_fma_f64 v[153:154], v[72:73], s[44:45], v[105:106]
	v_add_f64 v[89:90], v[145:146], v[89:90]
	v_mul_f64 v[137:138], v[74:75], s[20:21]
	v_fma_f64 v[145:146], v[72:73], s[22:23], v[133:134]
	v_add_f64 v[109:110], v[161:162], v[109:110]
	v_fma_f64 v[60:61], v[72:73], s[40:41], v[135:136]
	v_add_f64 v[113:114], v[143:144], v[147:148]
	v_mul_f64 v[127:128], v[74:75], s[18:19]
	v_fma_f64 v[58:59], v[72:73], s[42:43], v[115:116]
	v_fma_f64 v[68:69], v[72:73], s[6:7], v[115:116]
	v_mul_f64 v[115:116], v[74:75], s[14:15]
	v_add_f64 v[52:53], v[20:21], v[52:53]
	v_add_f64 v[62:63], v[99:100], v[62:63]
	;; [unrolled: 1-line block ×3, first 2 shown]
	v_fma_f64 v[99:100], v[72:73], s[36:37], v[103:104]
	v_fma_f64 v[101:102], v[72:73], s[30:31], v[105:106]
	v_add_f64 v[54:55], v[151:152], v[54:55]
	v_add_f64 v[56:57], v[141:142], v[56:57]
	;; [unrolled: 1-line block ×4, first 2 shown]
	v_fma_f64 v[111:112], v[72:73], s[38:39], v[133:134]
	v_fma_f64 v[123:124], v[72:73], s[28:29], v[135:136]
	v_add_f64 v[83:84], v[83:84], v[85:86]
	v_fma_f64 v[85:86], v[72:73], s[34:35], v[70:71]
	v_mul_f64 v[74:75], v[74:75], s[16:17]
	v_fma_f64 v[70:71], v[72:73], s[24:25], v[70:71]
	v_add_f64 v[0:1], v[66:67], v[0:1]
	v_add_f64 v[97:98], v[34:35], -v[26:27]
	v_mul_f64 v[121:122], v[95:96], s[18:19]
	v_mul_f64 v[125:126], v[95:96], s[16:17]
	v_fma_f64 v[155:156], v[91:92], s[38:39], v[117:118]
	v_fma_f64 v[157:158], v[91:92], s[6:7], v[119:120]
	v_add_f64 v[89:90], v[153:154], v[89:90]
	v_add_f64 v[52:53], v[16:17], v[52:53]
	;; [unrolled: 1-line block ×4, first 2 shown]
	v_fma_f64 v[103:104], v[91:92], s[40:41], v[137:138]
	v_fma_f64 v[105:106], v[91:92], s[44:45], v[127:128]
	v_mul_f64 v[66:67], v[95:96], s[4:5]
	v_mul_f64 v[72:73], v[95:96], s[14:15]
	v_add_f64 v[54:55], v[58:59], v[54:55]
	v_add_f64 v[56:57], v[68:69], v[56:57]
	v_fma_f64 v[58:59], v[91:92], s[34:35], v[115:116]
	v_fma_f64 v[68:69], v[91:92], s[24:25], v[115:116]
	v_mul_f64 v[113:114], v[95:96], s[8:9]
	v_add_f64 v[93:94], v[111:112], v[93:94]
	v_add_f64 v[107:108], v[123:124], v[107:108]
	v_fma_f64 v[111:112], v[91:92], s[28:29], v[137:138]
	v_fma_f64 v[115:116], v[91:92], s[30:31], v[127:128]
	v_add_f64 v[62:63], v[99:100], v[62:63]
	v_add_f64 v[64:65], v[101:102], v[64:65]
	v_fma_f64 v[99:100], v[91:92], s[22:23], v[117:118]
	v_fma_f64 v[101:102], v[91:92], s[42:43], v[119:120]
	v_add_f64 v[83:84], v[85:86], v[83:84]
	v_fma_f64 v[85:86], v[91:92], s[36:37], v[74:75]
	v_mul_f64 v[95:96], v[95:96], s[20:21]
	v_fma_f64 v[74:75], v[91:92], s[26:27], v[74:75]
	v_add_f64 v[0:1], v[70:71], v[0:1]
	v_add_f64 v[52:53], v[12:13], v[52:53]
	;; [unrolled: 1-line block ×4, first 2 shown]
	v_fma_f64 v[117:118], v[97:98], s[44:45], v[121:122]
	v_fma_f64 v[70:71], v[97:98], s[36:37], v[125:126]
	v_add_f64 v[91:92], v[103:104], v[109:110]
	v_add_f64 v[60:61], v[105:106], v[60:61]
	v_fma_f64 v[103:104], v[97:98], s[42:43], v[66:67]
	v_fma_f64 v[105:106], v[97:98], s[34:35], v[72:73]
	v_add_f64 v[54:55], v[58:59], v[54:55]
	v_add_f64 v[56:57], v[68:69], v[56:57]
	;; [unrolled: 4-line block ×4, first 2 shown]
	v_fma_f64 v[99:100], v[97:98], s[30:31], v[121:122]
	v_fma_f64 v[101:102], v[97:98], s[26:27], v[125:126]
	v_add_f64 v[83:84], v[85:86], v[83:84]
	v_fma_f64 v[85:86], v[97:98], s[28:29], v[95:96]
	v_fma_f64 v[95:96], v[97:98], s[40:41], v[95:96]
	v_add_f64 v[0:1], v[74:75], v[0:1]
	v_add_f64 v[52:53], v[8:9], v[52:53]
	;; [unrolled: 1-line block ×4, first 2 shown]
	s_load_dwordx2 s[2:3], s[2:3], 0x0
	v_add_f64 v[87:88], v[103:104], v[91:92]
	v_add_f64 v[60:61], v[105:106], v[60:61]
	v_cmp_gt_u32_e64 s0, 39, v82
	v_add_f64 v[54:55], v[58:59], v[54:55]
	v_add_f64 v[56:57], v[68:69], v[56:57]
	v_add_f64 v[58:59], v[66:67], v[93:94]
	v_add_f64 v[66:67], v[72:73], v[107:108]
	v_add_f64 v[62:63], v[99:100], v[62:63]
	v_add_f64 v[64:65], v[101:102], v[64:65]
	v_add_f64 v[68:69], v[85:86], v[83:84]
                                        ; implicit-def: $vgpr85_vgpr86
	v_add_f64 v[83:84], v[95:96], v[0:1]
	v_add_f64 v[52:53], v[4:5], v[52:53]
	v_mad_u32_u24 v0, 0x68, v82, 0
	ds_write2_b64 v0, v[74:75], v[70:71] offset0:2 offset1:3
	ds_write2_b64 v0, v[87:88], v[60:61] offset0:4 offset1:5
	ds_write2_b64 v0, v[54:55], v[56:57] offset0:6 offset1:7
	ds_write2_b64 v0, v[66:67], v[58:59] offset0:8 offset1:9
	ds_write2_b64 v0, v[64:65], v[62:63] offset0:10 offset1:11
	ds_write_b64 v0, v[83:84] offset:96
	ds_write2_b64 v0, v[52:53], v[68:69] offset1:1
	v_mad_i32_i24 v93, 0xffffffa0, v82, v0
	s_waitcnt lgkmcnt(0)
	s_barrier
	buffer_gl0_inv
                                        ; implicit-def: $vgpr87_vgpr88
	v_add_nc_u32_e32 v1, 0xc00, v93
	v_add_nc_u32_e32 v89, 0x1c00, v93
	;; [unrolled: 1-line block ×5, first 2 shown]
	ds_read2_b64 v[56:59], v93 offset1:117
	ds_read2_b64 v[68:71], v1 offset0:123 offset1:240
	ds_read2_b64 v[72:75], v89 offset0:118 offset1:235
	;; [unrolled: 1-line block ×5, first 2 shown]
	s_and_saveexec_b32 s1, s0
	s_cbranch_execz .LBB0_15
; %bb.14:
	ds_read_b64 v[83:84], v93 offset:3744
	ds_read_b64 v[87:88], v93 offset:7800
	ds_read_b64 v[85:86], v93 offset:11856
.LBB0_15:
	s_or_b32 exec_lo, exec_lo, s1
	v_add_f64 v[94:95], v[46:47], v[2:3]
	v_add_f64 v[24:25], v[32:33], -v[24:25]
	v_add_f64 v[4:5], v[44:45], -v[4:5]
	;; [unrolled: 1-line block ×3, first 2 shown]
	v_add_f64 v[44:45], v[6:7], v[46:47]
	v_add_f64 v[12:13], v[40:41], -v[12:13]
	v_add_f64 v[40:41], v[10:11], v[50:51]
	v_add_f64 v[46:47], v[14:15], v[42:43]
	v_add_f64 v[16:17], v[36:37], -v[16:17]
	v_add_f64 v[36:37], v[22:23], v[30:31]
	v_add_f64 v[20:21], v[28:29], -v[20:21]
	v_add_f64 v[28:29], v[26:27], v[34:35]
	v_add_f64 v[48:49], v[18:19], v[38:39]
	s_waitcnt lgkmcnt(0)
	s_barrier
	buffer_gl0_inv
	v_add_f64 v[94:95], v[50:51], v[94:95]
	v_mul_f64 v[138:139], v[24:25], s[40:41]
	v_mul_f64 v[50:51], v[4:5], s[42:43]
	;; [unrolled: 1-line block ×21, first 2 shown]
	v_add_f64 v[32:33], v[42:43], v[94:95]
	v_mul_f64 v[42:43], v[4:5], s[44:45]
	v_mul_f64 v[94:95], v[4:5], s[38:39]
	;; [unrolled: 1-line block ×3, first 2 shown]
	v_fma_f64 v[150:151], v[44:45], s[4:5], v[50:51]
	v_fma_f64 v[50:51], v[44:45], s[4:5], -v[50:51]
	v_fma_f64 v[154:155], v[44:45], s[16:17], v[98:99]
	v_fma_f64 v[98:99], v[44:45], s[16:17], -v[98:99]
	;; [unrolled: 2-line block ×7, first 2 shown]
	v_fma_f64 v[168:169], v[46:47], s[20:21], v[112:113]
	v_fma_f64 v[170:171], v[46:47], s[18:19], v[116:117]
	v_fma_f64 v[116:117], v[46:47], s[18:19], -v[116:117]
	v_fma_f64 v[172:173], v[46:47], s[4:5], v[118:119]
	v_add_f64 v[32:33], v[38:39], v[32:33]
	v_fma_f64 v[148:149], v[44:45], s[18:19], v[42:43]
	v_fma_f64 v[152:153], v[44:45], s[8:9], v[94:95]
	;; [unrolled: 1-line block ×3, first 2 shown]
	v_fma_f64 v[4:5], v[44:45], s[20:21], -v[4:5]
	v_fma_f64 v[94:95], v[44:45], s[8:9], -v[94:95]
	;; [unrolled: 1-line block ×4, first 2 shown]
	v_fma_f64 v[174:175], v[46:47], s[16:17], v[12:13]
	v_fma_f64 v[12:13], v[46:47], s[16:17], -v[12:13]
	v_add_f64 v[50:51], v[2:3], v[50:51]
	v_add_f64 v[98:99], v[2:3], v[98:99]
	v_mul_f64 v[38:39], v[16:17], s[38:39]
	v_mul_f64 v[16:17], v[16:17], s[6:7]
	;; [unrolled: 1-line block ×6, first 2 shown]
	v_fma_f64 v[178:179], v[48:49], s[20:21], v[126:127]
	v_mul_f64 v[20:21], v[20:21], s[24:25]
	v_mul_f64 v[140:141], v[24:25], s[30:31]
	;; [unrolled: 1-line block ×3, first 2 shown]
	v_add_f64 v[30:31], v[30:31], v[32:33]
	v_fma_f64 v[32:33], v[44:45], s[14:15], v[96:97]
	v_fma_f64 v[96:97], v[44:45], s[14:15], -v[96:97]
	v_fma_f64 v[44:45], v[40:41], s[4:5], v[100:101]
	v_fma_f64 v[100:101], v[40:41], s[4:5], -v[100:101]
	;; [unrolled: 2-line block ×3, first 2 shown]
	v_add_f64 v[4:5], v[2:3], v[4:5]
	v_add_f64 v[94:95], v[2:3], v[94:95]
	v_mul_f64 v[144:145], v[24:25], s[6:7]
	v_add_f64 v[50:51], v[102:103], v[50:51]
	v_mul_f64 v[146:147], v[24:25], s[24:25]
	v_fma_f64 v[176:177], v[48:49], s[8:9], v[38:39]
	v_fma_f64 v[38:39], v[48:49], s[8:9], -v[38:39]
	v_mul_f64 v[24:25], v[24:25], s[22:23]
	v_add_f64 v[30:31], v[34:35], v[30:31]
	v_fma_f64 v[34:35], v[46:47], s[20:21], -v[112:113]
	v_fma_f64 v[112:113], v[46:47], s[14:15], v[114:115]
	v_fma_f64 v[114:115], v[46:47], s[14:15], -v[114:115]
	v_add_f64 v[46:47], v[2:3], v[148:149]
	v_add_f64 v[148:149], v[2:3], v[150:151]
	;; [unrolled: 1-line block ×11, first 2 shown]
	v_fma_f64 v[42:43], v[48:49], s[14:15], -v[120:121]
	v_fma_f64 v[156:157], v[48:49], s[18:19], v[124:125]
	v_fma_f64 v[98:99], v[48:49], s[4:5], v[16:17]
	v_fma_f64 v[16:17], v[48:49], s[4:5], -v[16:17]
	v_fma_f64 v[124:125], v[48:49], s[18:19], -v[124:125]
	v_fma_f64 v[104:105], v[36:37], s[8:9], v[130:131]
	v_fma_f64 v[108:109], v[36:37], s[8:9], -v[130:131]
	v_add_f64 v[26:27], v[26:27], v[30:31]
	v_fma_f64 v[30:31], v[48:49], s[14:15], v[120:121]
	v_fma_f64 v[120:121], v[48:49], s[16:17], v[122:123]
	v_add_f64 v[34:35], v[34:35], v[50:51]
	v_add_f64 v[44:45], v[44:45], v[46:47]
	;; [unrolled: 1-line block ×9, first 2 shown]
	v_fma_f64 v[122:123], v[48:49], s[16:17], -v[122:123]
	v_add_f64 v[4:5], v[12:13], v[4:5]
	v_add_f64 v[8:9], v[118:119], v[8:9]
	;; [unrolled: 1-line block ×3, first 2 shown]
	v_fma_f64 v[94:95], v[36:37], s[20:21], -v[134:135]
	v_fma_f64 v[100:101], v[36:37], s[16:17], -v[128:129]
	;; [unrolled: 1-line block ×3, first 2 shown]
	v_fma_f64 v[118:119], v[28:29], s[8:9], v[24:25]
	v_fma_f64 v[24:25], v[28:29], s[8:9], -v[24:25]
	v_add_f64 v[22:23], v[22:23], v[26:27]
	v_fma_f64 v[26:27], v[48:49], s[20:21], -v[126:127]
	v_fma_f64 v[48:49], v[36:37], s[16:17], v[128:129]
	v_fma_f64 v[126:127], v[36:37], s[4:5], v[132:133]
	v_add_f64 v[40:41], v[40:41], v[44:45]
	v_add_f64 v[44:45], v[168:169], v[46:47]
	;; [unrolled: 1-line block ×8, first 2 shown]
	v_fma_f64 v[106:107], v[36:37], s[18:19], v[136:137]
	v_fma_f64 v[112:113], v[36:37], s[14:15], v[20:21]
	v_fma_f64 v[20:21], v[36:37], s[14:15], -v[20:21]
	v_add_f64 v[34:35], v[122:123], v[34:35]
	v_add_f64 v[4:5], v[16:17], v[4:5]
	v_fma_f64 v[110:111], v[36:37], s[18:19], -v[136:137]
	v_fma_f64 v[128:129], v[36:37], s[4:5], -v[132:133]
	v_add_f64 v[12:13], v[124:125], v[12:13]
	v_fma_f64 v[116:117], v[28:29], s[18:19], v[140:141]
	v_fma_f64 v[16:17], v[28:29], s[18:19], -v[140:141]
	v_add_f64 v[18:19], v[18:19], v[22:23]
	v_fma_f64 v[22:23], v[36:37], s[20:21], v[134:135]
	v_add_f64 v[8:9], v[26:27], v[8:9]
	v_fma_f64 v[36:37], v[28:29], s[20:21], v[138:139]
	v_add_f64 v[30:31], v[30:31], v[40:41]
	v_add_f64 v[40:41], v[120:121], v[44:45]
	;; [unrolled: 1-line block ×8, first 2 shown]
	v_fma_f64 v[26:27], v[28:29], s[16:17], -v[142:143]
	v_fma_f64 v[42:43], v[28:29], s[4:5], v[144:145]
	v_fma_f64 v[96:97], v[28:29], s[4:5], -v[144:145]
	v_fma_f64 v[98:99], v[28:29], s[14:15], v[146:147]
	v_fma_f64 v[102:103], v[28:29], s[14:15], -v[146:147]
	v_add_f64 v[34:35], v[108:109], v[34:35]
	v_add_f64 v[4:5], v[20:21], v[4:5]
	;; [unrolled: 1-line block ×4, first 2 shown]
	v_fma_f64 v[18:19], v[28:29], s[16:17], v[142:143]
	v_add_f64 v[8:9], v[110:111], v[8:9]
	v_add_f64 v[28:29], v[48:49], v[30:31]
	;; [unrolled: 1-line block ×12, first 2 shown]
                                        ; implicit-def: $vgpr24_vgpr25
                                        ; implicit-def: $vgpr26_vgpr27
	v_add_f64 v[10:11], v[10:11], v[14:15]
	v_add_f64 v[8:9], v[102:103], v[8:9]
	;; [unrolled: 1-line block ×11, first 2 shown]
	ds_write2_b64 v0, v[20:21], v[18:19] offset0:2 offset1:3
	ds_write2_b64 v0, v[22:23], v[30:31] offset0:4 offset1:5
	;; [unrolled: 1-line block ×5, first 2 shown]
	ds_write_b64 v0, v[32:33] offset:96
	ds_write2_b64 v0, v[2:3], v[14:15] offset1:1
	s_waitcnt lgkmcnt(0)
	s_barrier
	buffer_gl0_inv
	ds_read2_b64 v[4:7], v93 offset1:117
	ds_read2_b64 v[16:19], v1 offset0:123 offset1:240
	ds_read2_b64 v[12:15], v89 offset0:118 offset1:235
	;; [unrolled: 1-line block ×5, first 2 shown]
	s_and_saveexec_b32 s1, s0
	s_cbranch_execz .LBB0_17
; %bb.16:
	ds_read_b64 v[32:33], v93 offset:3744
	ds_read_b64 v[26:27], v93 offset:7800
	;; [unrolled: 1-line block ×3, first 2 shown]
.LBB0_17:
	s_or_b32 exec_lo, exec_lo, s1
	v_and_b32_e32 v98, 0xff, v82
	v_add_nc_u16 v95, v82, 0x75
	v_add_nc_u32_e32 v96, 0xea, v82
	v_mov_b32_e32 v28, 0x4ec5
	v_add_nc_u32_e32 v97, 0x15f, v82
	v_mul_lo_u16 v29, 0x4f, v98
	v_and_b32_e32 v99, 0xff, v95
	v_add_nc_u32_e32 v94, 0x1d4, v82
	v_mul_u32_u24_sdwa v30, v96, v28 dst_sel:DWORD dst_unused:UNUSED_PAD src0_sel:WORD_0 src1_sel:DWORD
	v_mul_u32_u24_sdwa v31, v97, v28 dst_sel:DWORD dst_unused:UNUSED_PAD src0_sel:WORD_0 src1_sel:DWORD
	v_lshrrev_b16 v141, 10, v29
	v_mul_lo_u16 v29, 0x4f, v99
	v_mul_u32_u24_sdwa v28, v94, v28 dst_sel:DWORD dst_unused:UNUSED_PAD src0_sel:WORD_0 src1_sel:DWORD
	v_lshrrev_b32_e32 v142, 18, v30
	v_lshrrev_b32_e32 v144, 18, v31
	v_mul_lo_u16 v30, v141, 13
	v_lshrrev_b16 v143, 10, v29
	v_lshrrev_b32_e32 v146, 18, v28
	v_mul_lo_u16 v29, v142, 13
	v_mov_b32_e32 v34, 5
	v_sub_nc_u16 v145, v82, v30
	v_mul_lo_u16 v28, v143, 13
	v_mul_lo_u16 v30, v144, 13
	v_sub_nc_u16 v147, v96, v29
	v_mul_lo_u16 v40, v146, 13
	v_lshlrev_b32_sdwa v35, v34, v145 dst_sel:DWORD dst_unused:UNUSED_PAD src0_sel:DWORD src1_sel:BYTE_0
	v_sub_nc_u16 v148, v95, v28
	v_sub_nc_u16 v149, v97, v30
	v_lshlrev_b32_sdwa v44, v34, v147 dst_sel:DWORD dst_unused:UNUSED_PAD src0_sel:DWORD src1_sel:WORD_0
	v_sub_nc_u16 v100, v94, v40
	s_clause 0x1
	global_load_dwordx4 v[28:31], v35, s[12:13] offset:16
	global_load_dwordx4 v[36:39], v35, s[12:13]
	v_lshlrev_b32_sdwa v35, v34, v148 dst_sel:DWORD dst_unused:UNUSED_PAD src0_sel:DWORD src1_sel:BYTE_0
	s_clause 0x1
	global_load_dwordx4 v[40:43], v44, s[12:13] offset:16
	global_load_dwordx4 v[48:51], v44, s[12:13]
	v_lshlrev_b32_sdwa v44, v34, v149 dst_sel:DWORD dst_unused:UNUSED_PAD src0_sel:DWORD src1_sel:WORD_0
	v_lshlrev_b32_sdwa v34, v34, v100 dst_sel:DWORD dst_unused:UNUSED_PAD src0_sel:DWORD src1_sel:WORD_0
	s_clause 0x5
	global_load_dwordx4 v[89:92], v35, s[12:13]
	global_load_dwordx4 v[101:104], v35, s[12:13] offset:16
	global_load_dwordx4 v[105:108], v44, s[12:13]
	global_load_dwordx4 v[109:112], v44, s[12:13] offset:16
	;; [unrolled: 2-line block ×3, first 2 shown]
	s_mov_b32 s4, 0xe8584caa
	s_mov_b32 s5, 0x3febb67a
	;; [unrolled: 1-line block ×4, first 2 shown]
	s_waitcnt vmcnt(0) lgkmcnt(0)
	s_barrier
	buffer_gl0_inv
	v_mul_f64 v[44:45], v[12:13], v[30:31]
	v_mul_f64 v[34:35], v[16:17], v[38:39]
	;; [unrolled: 1-line block ×20, first 2 shown]
	v_fma_f64 v[72:73], v[72:73], v[28:29], -v[44:45]
	v_fma_f64 v[68:69], v[68:69], v[36:37], -v[34:35]
	;; [unrolled: 1-line block ×10, first 2 shown]
	v_fma_f64 v[70:71], v[16:17], v[36:37], v[135:136]
	v_fma_f64 v[36:37], v[12:13], v[28:29], v[30:31]
	v_fma_f64 v[66:67], v[20:21], v[48:49], v[137:138]
	v_fma_f64 v[40:41], v[8:9], v[40:41], v[139:140]
	v_fma_f64 v[74:75], v[22:23], v[105:106], v[107:108]
	v_fma_f64 v[87:88], v[10:11], v[109:110], v[111:112]
	v_fma_f64 v[85:86], v[18:19], v[89:90], v[91:92]
	v_fma_f64 v[91:92], v[26:27], v[113:114], v[115:116]
	v_fma_f64 v[89:90], v[24:25], v[117:118], v[119:120]
	v_fma_f64 v[64:65], v[14:15], v[101:102], v[103:104]
	v_mov_b32_e32 v103, 0x138
	v_mul_u32_u24_e32 v104, 0x138, v142
	v_add_f64 v[8:9], v[68:69], v[72:73]
	v_add_f64 v[18:19], v[56:57], v[68:69]
	v_mul_u32_u24_e32 v105, 0x138, v144
	v_add_f64 v[12:13], v[34:35], v[38:39]
	v_add_f64 v[22:23], v[52:53], v[34:35]
	;; [unrolled: 1-line block ×8, first 2 shown]
	v_add_f64 v[20:21], v[70:71], -v[36:37]
	v_mul_u32_u24_sdwa v106, v143, v103 dst_sel:DWORD dst_unused:UNUSED_PAD src0_sel:WORD_0 src1_sel:DWORD
	v_add_f64 v[24:25], v[66:67], -v[40:41]
	v_add_f64 v[101:102], v[85:86], -v[64:65]
	v_fma_f64 v[56:57], v[8:9], -0.5, v[56:57]
	v_add_f64 v[18:19], v[18:19], v[72:73]
	v_mov_b32_e32 v8, 3
	v_fma_f64 v[12:13], v[12:13], -0.5, v[52:53]
	v_add_f64 v[52:53], v[74:75], -v[87:88]
	v_add_f64 v[22:23], v[22:23], v[38:39]
	v_fma_f64 v[9:10], v[10:11], -0.5, v[54:55]
	v_add_f64 v[54:55], v[91:92], -v[89:90]
	v_fma_f64 v[16:17], v[16:17], -0.5, v[83:84]
	v_fma_f64 v[14:15], v[14:15], -0.5, v[58:59]
	v_add_f64 v[48:49], v[28:29], v[50:51]
	v_add_f64 v[28:29], v[30:31], v[60:61]
	v_add_f64 v[26:27], v[26:27], v[62:63]
	v_mul_u32_u24_sdwa v83, v141, v103 dst_sel:DWORD dst_unused:UNUSED_PAD src0_sel:WORD_0 src1_sel:DWORD
	v_lshlrev_b32_sdwa v107, v8, v148 dst_sel:DWORD dst_unused:UNUSED_PAD src0_sel:DWORD src1_sel:BYTE_0
	v_mul_lo_u16 v84, v146, 39
	v_fma_f64 v[30:31], v[20:21], s[4:5], v[56:57]
	v_fma_f64 v[20:21], v[20:21], s[6:7], v[56:57]
	;; [unrolled: 1-line block ×4, first 2 shown]
	v_lshlrev_b32_sdwa v13, v8, v145 dst_sel:DWORD dst_unused:UNUSED_PAD src0_sel:DWORD src1_sel:BYTE_0
	v_fma_f64 v[24:25], v[52:53], s[4:5], v[9:10]
	v_fma_f64 v[9:10], v[52:53], s[6:7], v[9:10]
	;; [unrolled: 1-line block ×6, first 2 shown]
	v_lshlrev_b32_sdwa v16, v8, v147 dst_sel:DWORD dst_unused:UNUSED_PAD src0_sel:DWORD src1_sel:WORD_0
	v_lshlrev_b32_sdwa v17, v8, v149 dst_sel:DWORD dst_unused:UNUSED_PAD src0_sel:DWORD src1_sel:WORD_0
	v_add3_u32 v103, 0, v83, v13
	v_add3_u32 v102, 0, v104, v16
	;; [unrolled: 1-line block ×4, first 2 shown]
	ds_write2_b64 v103, v[18:19], v[30:31] offset1:13
	ds_write_b64 v103, v[20:21] offset:208
	ds_write2_b64 v104, v[28:29], v[58:59] offset1:13
	ds_write_b64 v104, v[14:15] offset:208
	;; [unrolled: 2-line block ×4, first 2 shown]
	s_and_saveexec_b32 s1, s0
	s_cbranch_execz .LBB0_19
; %bb.18:
	v_lshlrev_b32_sdwa v9, v8, v100 dst_sel:DWORD dst_unused:UNUSED_PAD src0_sel:DWORD src1_sel:WORD_0
	v_lshlrev_b32_sdwa v8, v8, v84 dst_sel:DWORD dst_unused:UNUSED_PAD src0_sel:DWORD src1_sel:WORD_0
	v_add3_u32 v8, 0, v9, v8
	ds_write2_b64 v8, v[48:49], v[52:53] offset1:13
	ds_write_b64 v8, v[54:55] offset:208
.LBB0_19:
	s_or_b32 exec_lo, exec_lo, s1
	v_add_nc_u32_e32 v12, 0xc00, v93
	v_add_nc_u32_e32 v13, 0x1c00, v93
	;; [unrolled: 1-line block ×5, first 2 shown]
	s_waitcnt lgkmcnt(0)
	s_barrier
	buffer_gl0_inv
	ds_read2_b64 v[8:11], v93 offset1:117
	ds_read2_b64 v[24:27], v12 offset0:123 offset1:240
	ds_read2_b64 v[28:31], v13 offset0:118 offset1:235
	;; [unrolled: 1-line block ×5, first 2 shown]
	v_lshl_add_u32 v83, v82, 3, 0
	s_and_saveexec_b32 s1, s0
	s_cbranch_execz .LBB0_21
; %bb.20:
	ds_read_b64 v[52:53], v93 offset:7800
	ds_read_b64 v[48:49], v83 offset:3744
	;; [unrolled: 1-line block ×3, first 2 shown]
.LBB0_21:
	s_or_b32 exec_lo, exec_lo, s1
	v_add_f64 v[56:57], v[70:71], v[36:37]
	v_add_f64 v[109:110], v[91:92], v[89:90]
	;; [unrolled: 1-line block ×6, first 2 shown]
	v_add_f64 v[68:69], v[68:69], -v[72:73]
	v_add_f64 v[72:73], v[6:7], v[85:86]
	v_add_f64 v[85:86], v[32:33], v[91:92]
	v_add_f64 v[42:43], v[42:43], -v[50:51]
	v_add_f64 v[44:45], v[44:45], -v[60:61]
	v_add_f64 v[66:67], v[0:1], v[66:67]
	v_add_f64 v[34:35], v[34:35], -v[38:39]
	v_add_f64 v[74:75], v[2:3], v[74:75]
	v_add_f64 v[38:39], v[46:47], -v[62:63]
	s_mov_b32 s4, 0xe8584caa
	s_mov_b32 s5, 0xbfebb67a
	s_mov_b32 s7, 0x3febb67a
	s_mov_b32 s6, s4
	s_waitcnt lgkmcnt(0)
	s_barrier
	buffer_gl0_inv
	v_fma_f64 v[4:5], v[56:57], -0.5, v[4:5]
	v_fma_f64 v[32:33], v[109:110], -0.5, v[32:33]
	;; [unrolled: 1-line block ×5, first 2 shown]
	v_add_f64 v[36:37], v[70:71], v[36:37]
	v_add_f64 v[46:47], v[72:73], v[64:65]
	v_add_f64 v[50:51], v[85:86], v[89:90]
	v_add_f64 v[40:41], v[66:67], v[40:41]
	v_add_f64 v[60:61], v[74:75], v[87:88]
	v_fma_f64 v[62:63], v[68:69], s[4:5], v[4:5]
	v_fma_f64 v[58:59], v[42:43], s[4:5], v[32:33]
	;; [unrolled: 1-line block ×10, first 2 shown]
	ds_write2_b64 v103, v[36:37], v[62:63] offset1:13
	ds_write_b64 v103, v[4:5] offset:208
	ds_write2_b64 v104, v[46:47], v[64:65] offset1:13
	ds_write_b64 v104, v[6:7] offset:208
	;; [unrolled: 2-line block ×4, first 2 shown]
	s_and_saveexec_b32 s1, s0
	s_cbranch_execz .LBB0_23
; %bb.22:
	v_mov_b32_e32 v0, 3
	v_lshlrev_b32_sdwa v1, v0, v100 dst_sel:DWORD dst_unused:UNUSED_PAD src0_sel:DWORD src1_sel:WORD_0
	v_lshlrev_b32_sdwa v0, v0, v84 dst_sel:DWORD dst_unused:UNUSED_PAD src0_sel:DWORD src1_sel:WORD_0
	v_add3_u32 v0, 0, v1, v0
	ds_write2_b64 v0, v[50:51], v[58:59] offset1:13
	ds_write_b64 v0, v[56:57] offset:208
.LBB0_23:
	s_or_b32 exec_lo, exec_lo, s1
	v_add_nc_u32_e32 v4, 0xc00, v93
	v_add_nc_u32_e32 v5, 0x1c00, v93
	;; [unrolled: 1-line block ×5, first 2 shown]
	s_waitcnt lgkmcnt(0)
	s_barrier
	buffer_gl0_inv
	ds_read2_b64 v[0:3], v93 offset1:117
	ds_read2_b64 v[44:47], v4 offset0:123 offset1:240
	ds_read2_b64 v[40:43], v5 offset0:118 offset1:235
	;; [unrolled: 1-line block ×5, first 2 shown]
	s_and_saveexec_b32 s1, s0
	s_cbranch_execz .LBB0_25
; %bb.24:
	ds_read_b64 v[58:59], v93 offset:7800
	ds_read_b64 v[50:51], v83 offset:3744
	;; [unrolled: 1-line block ×3, first 2 shown]
.LBB0_25:
	s_or_b32 exec_lo, exec_lo, s1
	v_mul_lo_u16 v60, 0xa5, v98
	v_mul_lo_u16 v61, 0xa5, v99
	v_mov_b32_e32 v62, 0xa41b
	s_mov_b32 s4, 0xe8584caa
	s_mov_b32 s5, 0x3febb67a
	v_lshrrev_b16 v60, 8, v60
	v_lshrrev_b16 v61, 8, v61
	v_mul_u32_u24_sdwa v65, v96, v62 dst_sel:DWORD dst_unused:UNUSED_PAD src0_sel:WORD_0 src1_sel:DWORD
	v_mul_u32_u24_sdwa v66, v97, v62 dst_sel:DWORD dst_unused:UNUSED_PAD src0_sel:WORD_0 src1_sel:DWORD
	s_mov_b32 s7, 0xbfebb67a
	v_sub_nc_u16 v63, v82, v60
	v_sub_nc_u16 v64, v95, v61
	v_lshrrev_b32_e32 v65, 16, v65
	v_lshrrev_b32_e32 v66, 16, v66
	s_mov_b32 s6, s4
	v_lshrrev_b16 v63, 1, v63
	v_lshrrev_b16 v64, 1, v64
	v_sub_nc_u16 v67, v96, v65
	v_and_b32_e32 v63, 0x7f, v63
	v_and_b32_e32 v64, 0x7f, v64
	v_add_nc_u16 v60, v63, v60
	v_sub_nc_u16 v63, v97, v66
	v_add_nc_u16 v61, v64, v61
	v_lshrrev_b16 v64, 1, v67
	v_lshrrev_b16 v60, 5, v60
	;; [unrolled: 1-line block ×4, first 2 shown]
	v_add_nc_u16 v64, v64, v65
	v_and_b32_e32 v92, 7, v60
	v_add_nc_u16 v60, v63, v66
	v_and_b32_e32 v127, 7, v61
	v_lshrrev_b16 v128, 5, v64
	v_mov_b32_e32 v63, 5
	v_mul_lo_u16 v61, v92, 39
	v_lshrrev_b16 v129, 5, v60
	v_mul_lo_u16 v60, v127, 39
	v_mul_lo_u16 v64, v128, 39
	v_sub_nc_u16 v130, v82, v61
	v_mul_lo_u16 v61, v129, 39
	v_sub_nc_u16 v131, v95, v60
	v_sub_nc_u16 v132, v96, v64
	v_lshlrev_b32_sdwa v60, v63, v130 dst_sel:DWORD dst_unused:UNUSED_PAD src0_sel:DWORD src1_sel:BYTE_0
	v_sub_nc_u16 v133, v97, v61
	v_lshlrev_b32_sdwa v61, v63, v131 dst_sel:DWORD dst_unused:UNUSED_PAD src0_sel:DWORD src1_sel:BYTE_0
	v_lshlrev_b32_sdwa v95, v63, v132 dst_sel:DWORD dst_unused:UNUSED_PAD src0_sel:DWORD src1_sel:WORD_0
	s_clause 0x1
	global_load_dwordx4 v[64:67], v60, s[12:13] offset:432
	global_load_dwordx4 v[68:71], v60, s[12:13] offset:416
	v_lshlrev_b32_sdwa v60, v63, v133 dst_sel:DWORD dst_unused:UNUSED_PAD src0_sel:DWORD src1_sel:WORD_0
	s_clause 0x5
	global_load_dwordx4 v[72:75], v61, s[12:13] offset:416
	global_load_dwordx4 v[84:87], v61, s[12:13] offset:432
	;; [unrolled: 1-line block ×6, first 2 shown]
	v_mul_u32_u24_sdwa v60, v94, v62 dst_sel:DWORD dst_unused:UNUSED_PAD src0_sel:WORD_0 src1_sel:DWORD
	v_lshrrev_b32_e32 v60, 16, v60
	v_sub_nc_u16 v61, v94, v60
	v_lshrrev_b16 v61, 1, v61
	v_add_nc_u16 v60, v61, v60
	v_lshrrev_b16 v60, 5, v60
	v_mul_lo_u16 v60, v60, 39
	v_sub_nc_u16 v60, v94, v60
	v_and_b32_e32 v134, 0xffff, v60
	v_lshlrev_b32_e32 v60, 5, v134
	s_clause 0x1
	global_load_dwordx4 v[107:110], v60, s[12:13] offset:416
	global_load_dwordx4 v[111:114], v60, s[12:13] offset:432
	s_waitcnt vmcnt(0) lgkmcnt(0)
	s_barrier
	buffer_gl0_inv
	v_mul_f64 v[115:116], v[46:47], v[74:75]
	v_mul_f64 v[117:118], v[42:43], v[86:87]
	;; [unrolled: 1-line block ×16, first 2 shown]
	v_fma_f64 v[30:31], v[30:31], v[84:85], -v[117:118]
	v_fma_f64 v[62:63], v[28:29], v[64:65], -v[62:63]
	;; [unrolled: 1-line block ×8, first 2 shown]
	v_fma_f64 v[16:17], v[32:33], v[95:96], v[97:98]
	v_fma_f64 v[44:45], v[44:45], v[68:69], v[70:71]
	;; [unrolled: 1-line block ×8, first 2 shown]
	v_mov_b32_e32 v98, 0x3a8
	v_mov_b32_e32 v99, 3
	v_mul_u32_u24_sdwa v100, v128, v98 dst_sel:DWORD dst_unused:UNUSED_PAD src0_sel:WORD_0 src1_sel:DWORD
	v_mul_u32_u24_sdwa v101, v129, v98 dst_sel:DWORD dst_unused:UNUSED_PAD src0_sel:WORD_0 src1_sel:DWORD
	;; [unrolled: 1-line block ×3, first 2 shown]
	v_add_f64 v[64:65], v[60:61], v[62:63]
	v_add_f64 v[42:43], v[28:29], v[30:31]
	;; [unrolled: 1-line block ×8, first 2 shown]
	v_mul_f64 v[68:69], v[58:59], v[109:110]
	v_mul_f64 v[70:71], v[52:53], v[109:110]
	;; [unrolled: 1-line block ×3, first 2 shown]
	v_add_f64 v[88:89], v[44:45], -v[18:19]
	v_add_f64 v[94:95], v[36:37], -v[16:17]
	;; [unrolled: 1-line block ×3, first 2 shown]
	v_fma_f64 v[8:9], v[64:65], -0.5, v[8:9]
	v_add_f64 v[64:65], v[40:41], -v[32:33]
	v_fma_f64 v[10:11], v[42:43], -0.5, v[10:11]
	v_fma_f64 v[14:15], v[66:67], -0.5, v[14:15]
	v_mul_f64 v[66:67], v[54:55], v[113:114]
	v_fma_f64 v[12:13], v[38:39], -0.5, v[12:13]
	v_fma_f64 v[42:43], v[52:53], v[107:108], -v[68:69]
	v_fma_f64 v[38:39], v[58:59], v[107:108], v[70:71]
	v_fma_f64 v[52:53], v[54:55], v[111:112], -v[72:73]
	v_add_f64 v[70:71], v[84:85], v[22:23]
	v_add_f64 v[72:73], v[86:87], v[62:63]
	;; [unrolled: 1-line block ×4, first 2 shown]
	v_lshlrev_b32_sdwa v59, v99, v130 dst_sel:DWORD dst_unused:UNUSED_PAD src0_sel:DWORD src1_sel:BYTE_0
	v_add3_u32 v59, 0, v92, v59
	v_fma_f64 v[84:85], v[88:89], s[4:5], v[8:9]
	v_fma_f64 v[8:9], v[88:89], s[6:7], v[8:9]
	;; [unrolled: 1-line block ×9, first 2 shown]
	v_lshlrev_b32_sdwa v56, v99, v132 dst_sel:DWORD dst_unused:UNUSED_PAD src0_sel:DWORD src1_sel:WORD_0
	v_lshlrev_b32_sdwa v57, v99, v133 dst_sel:DWORD dst_unused:UNUSED_PAD src0_sel:DWORD src1_sel:WORD_0
	v_mul_u32_u24_sdwa v64, v127, v98 dst_sel:DWORD dst_unused:UNUSED_PAD src0_sel:WORD_0 src1_sel:DWORD
	v_lshlrev_b32_sdwa v65, v99, v131 dst_sel:DWORD dst_unused:UNUSED_PAD src0_sel:DWORD src1_sel:BYTE_0
	v_add3_u32 v58, 0, v100, v56
	v_add3_u32 v57, 0, v101, v57
	v_lshl_add_u32 v56, v134, 3, 0
	v_add3_u32 v64, 0, v64, v65
	ds_write2_b64 v59, v[72:73], v[84:85] offset1:39
	ds_write_b64 v59, v[8:9] offset:624
	ds_write2_b64 v64, v[74:75], v[86:87] offset1:39
	ds_write_b64 v64, v[10:11] offset:624
	;; [unrolled: 2-line block ×4, first 2 shown]
	s_and_saveexec_b32 s1, s0
	s_cbranch_execz .LBB0_27
; %bb.26:
	v_add_f64 v[8:9], v[42:43], v[52:53]
	v_add_f64 v[10:11], v[38:39], -v[54:55]
	v_add_f64 v[12:13], v[48:49], v[42:43]
	v_fma_f64 v[8:9], v[8:9], -0.5, v[48:49]
	v_add_f64 v[12:13], v[12:13], v[52:53]
	v_fma_f64 v[14:15], v[10:11], s[4:5], v[8:9]
	v_fma_f64 v[8:9], v[10:11], s[6:7], v[8:9]
	v_add_nc_u32_e32 v10, 0x2800, v56
	ds_write2_b64 v10, v[12:13], v[14:15] offset0:124 offset1:163
	ds_write_b64 v56, v[8:9] offset:11856
.LBB0_27:
	s_or_b32 exec_lo, exec_lo, s1
	v_add_f64 v[8:9], v[44:45], v[18:19]
	v_add_f64 v[10:11], v[40:41], v[32:33]
	;; [unrolled: 1-line block ×5, first 2 shown]
	v_add_f64 v[60:61], v[60:61], -v[62:63]
	v_add_f64 v[28:29], v[28:29], -v[30:31]
	v_add_f64 v[30:31], v[4:5], v[36:37]
	v_add_f64 v[36:37], v[6:7], v[46:47]
	;; [unrolled: 1-line block ×3, first 2 shown]
	v_add_f64 v[24:25], v[24:25], -v[26:27]
	v_add_f64 v[26:27], v[20:21], -v[22:23]
	v_add_nc_u32_e32 v65, 0x1800, v93
	v_add_nc_u32_e32 v20, 0x1000, v93
	v_add_nc_u32_e32 v66, 0x2000, v93
	v_add_nc_u32_e32 v67, 0x2800, v93
	s_waitcnt lgkmcnt(0)
	s_barrier
	buffer_gl0_inv
	ds_read_b64 v[44:45], v83 offset:3744
	v_fma_f64 v[8:9], v[8:9], -0.5, v[0:1]
	v_fma_f64 v[10:11], v[10:11], -0.5, v[2:3]
	;; [unrolled: 1-line block ×4, first 2 shown]
	v_add_nc_u32_e32 v4, 0x400, v93
	v_add_f64 v[46:47], v[48:49], v[18:19]
	ds_read2_b64 v[0:3], v93 offset1:117
	ds_read2_b64 v[4:7], v4 offset0:106 offset1:223
	ds_read2_b64 v[20:23], v20 offset0:73 offset1:190
	v_add_f64 v[34:35], v[36:37], v[34:35]
	v_add_f64 v[32:33], v[40:41], v[32:33]
	;; [unrolled: 1-line block ×3, first 2 shown]
	v_fma_f64 v[36:37], v[60:61], s[6:7], v[8:9]
	v_fma_f64 v[40:41], v[60:61], s[4:5], v[8:9]
	;; [unrolled: 1-line block ×8, first 2 shown]
	ds_read2_b64 v[16:19], v65 offset0:51 offset1:168
	ds_read2_b64 v[12:15], v66 offset0:29 offset1:146
	;; [unrolled: 1-line block ×3, first 2 shown]
	s_waitcnt lgkmcnt(0)
	s_barrier
	buffer_gl0_inv
	ds_write2_b64 v59, v[46:47], v[36:37] offset1:39
	ds_write_b64 v59, v[40:41] offset:624
	ds_write2_b64 v64, v[32:33], v[48:49] offset1:39
	ds_write_b64 v64, v[28:29] offset:624
	;; [unrolled: 2-line block ×4, first 2 shown]
	s_and_saveexec_b32 s1, s0
	s_cbranch_execz .LBB0_29
; %bb.28:
	v_add_f64 v[24:25], v[38:39], v[54:55]
	v_add_f64 v[26:27], v[42:43], -v[52:53]
	v_add_f64 v[28:29], v[50:51], v[38:39]
	s_mov_b32 s5, 0xbfebb67a
	s_mov_b32 s4, 0xe8584caa
	v_fma_f64 v[24:25], v[24:25], -0.5, v[50:51]
	v_add_f64 v[28:29], v[28:29], v[54:55]
	v_fma_f64 v[30:31], v[26:27], s[4:5], v[24:25]
	s_mov_b32 s5, 0x3febb67a
	v_fma_f64 v[24:25], v[26:27], s[4:5], v[24:25]
	v_add_nc_u32_e32 v26, 0x2800, v56
	ds_write2_b64 v26, v[28:29], v[30:31] offset0:124 offset1:163
	ds_write_b64 v56, v[24:25] offset:11856
.LBB0_29:
	s_or_b32 exec_lo, exec_lo, s1
	s_waitcnt lgkmcnt(0)
	s_barrier
	buffer_gl0_inv
	s_and_saveexec_b32 s0, vcc_lo
	s_cbranch_execz .LBB0_31
; %bb.30:
	v_mul_u32_u24_e32 v24, 12, v82
	v_add_nc_u32_e32 v42, 0x1800, v93
	s_mov_b32 s6, 0x1ea71119
	s_mov_b32 s7, 0x3fe22d96
	;; [unrolled: 1-line block ×3, first 2 shown]
	v_lshlrev_b32_e32 v62, 4, v24
	v_add_nc_u32_e32 v24, 0x1000, v93
	s_mov_b32 s8, 0x42a4c3d2
	s_mov_b32 s1, 0xbfd6b1d8
	;; [unrolled: 1-line block ×3, first 2 shown]
	s_clause 0x3
	global_load_dwordx4 v[26:29], v62, s[12:13] offset:1744
	global_load_dwordx4 v[30:33], v62, s[12:13] offset:1728
	;; [unrolled: 1-line block ×4, first 2 shown]
	ds_read2_b64 v[46:49], v24 offset0:73 offset1:190
	s_mov_b32 s4, 0x2ef20147
	s_mov_b32 s5, 0x3fedeba7
	;; [unrolled: 1-line block ×24, first 2 shown]
	v_lshlrev_b64 v[76:77], 4, v[76:77]
	global_load_dwordx4 v[54:57], v62, s[12:13] offset:1712
	s_waitcnt vmcnt(4)
	v_mul_f64 v[24:25], v[22:23], v[28:29]
	s_waitcnt lgkmcnt(0)
	v_mul_f64 v[28:29], v[48:49], v[28:29]
	v_fma_f64 v[24:25], v[48:49], v[26:27], v[24:25]
	v_fma_f64 v[22:23], v[22:23], v[26:27], -v[28:29]
	s_waitcnt vmcnt(3)
	v_mul_f64 v[26:27], v[20:21], v[32:33]
	v_mul_f64 v[28:29], v[46:47], v[32:33]
	v_fma_f64 v[26:27], v[46:47], v[30:31], v[26:27]
	ds_read2_b64 v[46:49], v42 offset0:51 offset1:168
	v_fma_f64 v[28:29], v[20:21], v[30:31], -v[28:29]
	s_waitcnt vmcnt(2)
	v_mul_f64 v[20:21], v[16:17], v[36:37]
	s_waitcnt lgkmcnt(0)
	v_mul_f64 v[30:31], v[46:47], v[36:37]
	s_waitcnt vmcnt(1)
	v_mul_f64 v[32:33], v[48:49], v[40:41]
	v_fma_f64 v[20:21], v[46:47], v[34:35], v[20:21]
	v_add_nc_u32_e32 v46, 0x2000, v93
	v_fma_f64 v[16:17], v[16:17], v[34:35], -v[30:31]
	global_load_dwordx4 v[34:37], v62, s[12:13] offset:1792
	v_mul_f64 v[30:31], v[18:19], v[40:41]
	global_load_dwordx4 v[40:43], v62, s[12:13] offset:1808
	v_fma_f64 v[32:33], v[18:19], v[38:39], -v[32:33]
	v_add_f64 v[74:75], v[24:25], v[20:21]
	v_add_f64 v[66:67], v[22:23], -v[16:17]
	v_fma_f64 v[30:31], v[48:49], v[38:39], v[30:31]
	ds_read2_b64 v[46:49], v46 offset0:29 offset1:146
	v_add_nc_u32_e32 v38, 0x400, v93
	v_add_f64 v[86:87], v[28:29], -v[32:33]
	v_add_f64 v[72:73], v[28:29], v[32:33]
	v_mul_f64 v[122:123], v[74:75], s[30:31]
	v_mul_f64 v[152:153], v[74:75], s[20:21]
	;; [unrolled: 1-line block ×5, first 2 shown]
	v_add_f64 v[102:103], v[26:27], v[30:31]
	v_add_f64 v[84:85], v[26:27], -v[30:31]
	v_mul_f64 v[118:119], v[102:103], s[24:25]
	v_mul_f64 v[120:121], v[84:85], s[28:29]
	;; [unrolled: 1-line block ×6, first 2 shown]
	s_waitcnt vmcnt(1)
	v_mul_f64 v[18:19], v[12:13], v[36:37]
	s_waitcnt lgkmcnt(0)
	v_mul_f64 v[36:37], v[46:47], v[36:37]
	v_fma_f64 v[18:19], v[46:47], v[34:35], v[18:19]
	v_fma_f64 v[12:13], v[12:13], v[34:35], -v[36:37]
	s_waitcnt vmcnt(0)
	v_mul_f64 v[34:35], v[14:15], v[42:43]
	v_mul_f64 v[36:37], v[48:49], v[42:43]
	v_fma_f64 v[34:35], v[48:49], v[40:41], v[34:35]
	global_load_dwordx4 v[48:51], v62, s[12:13] offset:1696
	v_fma_f64 v[36:37], v[14:15], v[40:41], -v[36:37]
	ds_read2_b64 v[38:41], v38 offset0:106 offset1:223
	s_waitcnt vmcnt(0)
	v_mul_f64 v[14:15], v[6:7], v[50:51]
	s_waitcnt lgkmcnt(0)
	v_fma_f64 v[46:47], v[40:41], v[48:49], v[14:15]
	v_mul_f64 v[14:15], v[40:41], v[50:51]
	s_clause 0x1
	global_load_dwordx4 v[40:43], v62, s[12:13] offset:1680
	global_load_dwordx4 v[58:61], v62, s[12:13] offset:1664
	v_add_f64 v[96:97], v[46:47], v[34:35]
	v_fma_f64 v[48:49], v[6:7], v[48:49], -v[14:15]
	v_add_f64 v[100:101], v[46:47], -v[34:35]
	v_mul_f64 v[110:111], v[96:97], s[14:15]
	v_add_f64 v[90:91], v[48:49], -v[36:37]
	v_add_f64 v[94:95], v[48:49], v[36:37]
	v_mul_f64 v[112:113], v[100:101], s[16:17]
	v_mul_f64 v[186:187], v[96:97], s[30:31]
	;; [unrolled: 1-line block ×4, first 2 shown]
	s_waitcnt vmcnt(1)
	v_mul_f64 v[6:7], v[4:5], v[42:43]
	v_fma_f64 v[50:51], v[38:39], v[40:41], v[6:7]
	v_mul_f64 v[6:7], v[38:39], v[42:43]
	v_add_nc_u32_e32 v38, 0x2800, v93
	v_fma_f64 v[52:53], v[4:5], v[40:41], -v[6:7]
	s_clause 0x1
	global_load_dwordx4 v[4:7], v62, s[12:13] offset:1824
	global_load_dwordx4 v[62:65], v62, s[12:13] offset:1840
	ds_read2_b64 v[40:43], v38 offset0:7 offset1:124
	s_mov_b32 s13, 0xbfedeba7
	s_mov_b32 s12, s4
	s_waitcnt vmcnt(1)
	v_mul_f64 v[14:15], v[8:9], v[6:7]
	s_waitcnt lgkmcnt(0)
	v_mul_f64 v[6:7], v[40:41], v[6:7]
	v_fma_f64 v[38:39], v[40:41], v[4:5], v[14:15]
	v_fma_f64 v[40:41], v[8:9], v[4:5], -v[6:7]
	s_waitcnt vmcnt(0)
	v_mul_f64 v[4:5], v[10:11], v[64:65]
	v_mul_f64 v[6:7], v[44:45], v[56:57]
	;; [unrolled: 1-line block ×3, first 2 shown]
	v_add_f64 v[70:71], v[50:51], -v[38:39]
	v_add_f64 v[68:69], v[52:53], v[40:41]
	v_fma_f64 v[14:15], v[42:43], v[62:63], v[4:5]
	v_mul_f64 v[4:5], v[42:43], v[64:65]
	v_add_f64 v[64:65], v[24:25], -v[20:21]
	v_mul_f64 v[108:109], v[70:71], s[12:13]
	v_mul_f64 v[136:137], v[70:71], s[16:17]
	v_mul_f64 v[184:185], v[70:71], s[22:23]
	v_fma_f64 v[10:11], v[10:11], v[62:63], -v[4:5]
	ds_read_b64 v[4:5], v83 offset:3744
	v_add_f64 v[82:83], v[50:51], v[38:39]
	v_mul_f64 v[124:125], v[64:65], s[36:37]
	v_mul_f64 v[216:217], v[64:65], s[12:13]
	;; [unrolled: 1-line block ×3, first 2 shown]
	v_fma_f64 v[62:63], v[68:69], s[0:1], -v[108:109]
	v_fma_f64 v[138:139], v[68:69], s[14:15], -v[136:137]
	s_waitcnt lgkmcnt(0)
	v_fma_f64 v[42:43], v[4:5], v[54:55], v[6:7]
	v_mul_f64 v[4:5], v[4:5], v[56:57]
	v_mul_f64 v[106:107], v[82:83], s[0:1]
	;; [unrolled: 1-line block ×3, first 2 shown]
	v_add_f64 v[104:105], v[42:43], v[18:19]
	v_fma_f64 v[44:45], v[44:45], v[54:55], -v[4:5]
	ds_read2_b64 v[4:7], v93 offset1:117
	v_add_f64 v[98:99], v[42:43], -v[18:19]
	s_waitcnt lgkmcnt(0)
	v_fma_f64 v[54:55], v[6:7], v[58:59], v[8:9]
	v_mul_f64 v[6:7], v[6:7], v[60:61]
	v_add_f64 v[60:61], v[52:53], -v[40:41]
	v_add_f64 v[88:89], v[44:45], -v[12:13]
	v_mul_f64 v[114:115], v[104:105], s[20:21]
	v_add_f64 v[92:93], v[44:45], v[12:13]
	v_mul_f64 v[116:117], v[98:99], s[22:23]
	v_mul_f64 v[190:191], v[104:105], s[24:25]
	;; [unrolled: 1-line block ×5, first 2 shown]
	v_add_f64 v[132:133], v[54:55], -v[14:15]
	v_fma_f64 v[2:3], v[2:3], v[58:59], -v[6:7]
	v_add_f64 v[58:59], v[54:55], v[14:15]
	v_fma_f64 v[8:9], v[60:61], s[12:13], v[106:107]
	v_mul_f64 v[130:131], v[132:133], s[8:9]
	v_add_f64 v[56:57], v[2:3], -v[10:11]
	v_mul_f64 v[126:127], v[58:59], s[6:7]
	v_add_f64 v[128:129], v[2:3], v[10:11]
	v_add_f64 v[174:175], v[0:1], v[2:3]
	v_fma_f64 v[6:7], v[56:57], s[8:9], v[126:127]
	v_add_f64 v[6:7], v[4:5], v[6:7]
	v_add_f64 v[6:7], v[8:9], v[6:7]
	v_fma_f64 v[8:9], v[128:129], s[6:7], -v[130:131]
	v_fma_f64 v[130:131], v[128:129], s[6:7], v[130:131]
	v_add_f64 v[8:9], v[0:1], v[8:9]
	v_add_f64 v[180:181], v[0:1], v[130:131]
	v_mul_f64 v[130:131], v[82:83], s[20:21]
	v_add_f64 v[8:9], v[62:63], v[8:9]
	v_fma_f64 v[62:63], v[90:91], s[16:17], v[110:111]
	v_add_f64 v[6:7], v[62:63], v[6:7]
	v_fma_f64 v[62:63], v[94:95], s[14:15], -v[112:113]
	v_add_f64 v[8:9], v[62:63], v[8:9]
	v_fma_f64 v[62:63], v[88:89], s[22:23], v[114:115]
	v_add_f64 v[6:7], v[62:63], v[6:7]
	v_fma_f64 v[62:63], v[92:93], s[20:21], -v[116:117]
	;; [unrolled: 4-line block ×3, first 2 shown]
	v_add_f64 v[134:135], v[62:63], v[8:9]
	v_fma_f64 v[8:9], v[66:67], s[36:37], v[122:123]
	v_add_f64 v[62:63], v[22:23], v[16:17]
	v_add_f64 v[8:9], v[8:9], v[6:7]
	v_fma_f64 v[6:7], v[62:63], s[30:31], -v[124:125]
	v_add_f64 v[6:7], v[6:7], v[134:135]
	v_mul_lo_u32 v134, s3, v80
	v_mul_lo_u32 v135, s2, v81
	v_mad_u64_u32 v[80:81], null, s2, v80, 0
	s_mov_b32 s3, 0xbfe5384d
	s_mov_b32 s2, s22
	v_mul_f64 v[154:155], v[64:65], s[2:3]
	v_add3_u32 v81, v81, v135, v134
	v_mul_f64 v[134:135], v[82:83], s[14:15]
	v_lshlrev_b64 v[80:81], 4, v[80:81]
	v_add_co_u32 v80, vcc_lo, s10, v80
	v_add_co_ci_u32_e32 v81, vcc_lo, s11, v81, vcc_lo
	s_mov_b32 s11, 0x3fea55e2
	v_add_co_u32 v80, vcc_lo, v80, v76
	v_add_co_ci_u32_e32 v81, vcc_lo, v81, v77, vcc_lo
	v_lshlrev_b64 v[76:77], 4, v[78:79]
	s_mov_b32 s10, s8
	v_fma_f64 v[126:127], v[56:57], s[10:11], v[126:127]
	v_mul_f64 v[200:201], v[64:65], s[10:11]
	v_add_co_u32 v76, vcc_lo, v80, v76
	v_add_co_ci_u32_e32 v77, vcc_lo, v81, v77, vcc_lo
	v_mul_f64 v[80:81], v[132:133], s[26:27]
	v_add_co_u32 v78, vcc_lo, 0x800, v76
	v_add_co_ci_u32_e32 v79, vcc_lo, 0, v77, vcc_lo
	global_store_dwordx4 v[78:79], v[6:9], off offset:1696
	v_mul_f64 v[78:79], v[58:59], s[24:25]
	v_fma_f64 v[8:9], v[60:61], s[16:17], v[134:135]
	v_add_f64 v[166:167], v[4:5], v[126:127]
	v_fma_f64 v[6:7], v[56:57], s[26:27], v[78:79]
	v_fma_f64 v[78:79], v[56:57], s[28:29], v[78:79]
	v_add_f64 v[6:7], v[4:5], v[6:7]
	v_add_f64 v[164:165], v[4:5], v[78:79]
	v_mul_f64 v[78:79], v[132:133], s[34:35]
	v_add_f64 v[6:7], v[8:9], v[6:7]
	v_fma_f64 v[8:9], v[128:129], s[24:25], -v[80:81]
	v_fma_f64 v[80:81], v[128:129], s[24:25], v[80:81]
	v_fma_f64 v[172:173], v[128:129], s[30:31], v[78:79]
	v_fma_f64 v[78:79], v[128:129], s[30:31], -v[78:79]
	v_add_f64 v[8:9], v[0:1], v[8:9]
	v_add_f64 v[178:179], v[0:1], v[80:81]
	;; [unrolled: 1-line block ×4, first 2 shown]
	v_mul_f64 v[80:81], v[70:71], s[36:37]
	v_mul_f64 v[78:79], v[82:83], s[30:31]
	v_add_f64 v[8:9], v[138:139], v[8:9]
	v_mul_f64 v[138:139], v[96:97], s[0:1]
	v_fma_f64 v[140:141], v[90:91], s[4:5], v[138:139]
	v_add_f64 v[6:7], v[140:141], v[6:7]
	v_mul_f64 v[140:141], v[100:101], s[4:5]
	v_fma_f64 v[142:143], v[94:95], s[0:1], -v[140:141]
	v_add_f64 v[8:9], v[142:143], v[8:9]
	v_mul_f64 v[142:143], v[104:105], s[30:31]
	v_fma_f64 v[144:145], v[88:89], s[36:37], v[142:143]
	v_add_f64 v[6:7], v[144:145], v[6:7]
	v_mul_f64 v[144:145], v[98:99], s[36:37]
	v_fma_f64 v[146:147], v[92:93], s[30:31], -v[144:145]
	;; [unrolled: 6-line block ×3, first 2 shown]
	v_add_f64 v[150:151], v[150:151], v[8:9]
	v_fma_f64 v[8:9], v[66:67], s[2:3], v[152:153]
	v_add_f64 v[8:9], v[8:9], v[6:7]
	v_fma_f64 v[6:7], v[62:63], s[20:21], -v[154:155]
	v_add_f64 v[6:7], v[6:7], v[150:151]
	v_add_co_u32 v150, vcc_lo, 0x1000, v76
	v_add_co_ci_u32_e32 v151, vcc_lo, 0, v77, vcc_lo
	global_store_dwordx4 v[150:151], v[6:9], off offset:1520
	v_mul_f64 v[6:7], v[58:59], s[14:15]
	v_mul_f64 v[8:9], v[58:59], s[20:21]
	;; [unrolled: 1-line block ×4, first 2 shown]
	v_fma_f64 v[156:157], v[56:57], s[16:17], v[6:7]
	v_fma_f64 v[6:7], v[56:57], s[18:19], v[6:7]
	v_fma_f64 v[158:159], v[56:57], s[2:3], v[8:9]
	v_fma_f64 v[8:9], v[56:57], s[22:23], v[8:9]
	v_fma_f64 v[160:161], v[56:57], s[12:13], v[150:151]
	v_fma_f64 v[150:151], v[56:57], s[4:5], v[150:151]
	v_fma_f64 v[162:163], v[56:57], s[36:37], v[58:59]
	v_fma_f64 v[56:57], v[56:57], s[34:35], v[58:59]
	v_add_f64 v[58:59], v[4:5], v[54:55]
	v_add_f64 v[156:157], v[4:5], v[156:157]
	;; [unrolled: 1-line block ×9, first 2 shown]
	v_mul_f64 v[4:5], v[132:133], s[16:17]
	v_mul_f64 v[6:7], v[132:133], s[2:3]
	;; [unrolled: 1-line block ×3, first 2 shown]
	v_fma_f64 v[126:127], v[128:129], s[14:15], -v[4:5]
	v_fma_f64 v[4:5], v[128:129], s[14:15], v[4:5]
	v_fma_f64 v[132:133], v[128:129], s[20:21], -v[6:7]
	v_fma_f64 v[6:7], v[128:129], s[20:21], v[6:7]
	v_fma_f64 v[170:171], v[128:129], s[0:1], -v[56:57]
	v_fma_f64 v[56:57], v[128:129], s[0:1], v[56:57]
	v_add_f64 v[126:127], v[0:1], v[126:127]
	v_add_f64 v[128:129], v[0:1], v[132:133]
	;; [unrolled: 1-line block ×6, first 2 shown]
	v_fma_f64 v[0:1], v[60:61], s[22:23], v[130:131]
	v_fma_f64 v[4:5], v[68:69], s[20:21], -v[184:185]
	v_fma_f64 v[56:57], v[68:69], s[30:31], -v[80:81]
	v_fma_f64 v[80:81], v[68:69], s[30:31], v[80:81]
	v_add_f64 v[0:1], v[0:1], v[54:55]
	v_add_f64 v[2:3], v[4:5], v[2:3]
	v_fma_f64 v[4:5], v[90:91], s[36:37], v[186:187]
	v_add_f64 v[56:57], v[56:57], v[126:127]
	v_mul_f64 v[126:127], v[96:97], s[20:21]
	v_add_f64 v[80:81], v[80:81], v[132:133]
	v_fma_f64 v[132:133], v[62:63], s[24:25], v[230:231]
	v_add_f64 v[0:1], v[4:5], v[0:1]
	v_fma_f64 v[4:5], v[94:95], s[30:31], -v[188:189]
	v_add_f64 v[2:3], v[4:5], v[2:3]
	v_fma_f64 v[4:5], v[88:89], s[26:27], v[190:191]
	v_add_f64 v[0:1], v[4:5], v[0:1]
	v_fma_f64 v[4:5], v[92:93], s[24:25], -v[192:193]
	;; [unrolled: 4-line block ×4, first 2 shown]
	v_add_f64 v[0:1], v[0:1], v[4:5]
	v_fma_f64 v[4:5], v[60:61], s[28:29], v[202:203]
	v_add_f64 v[4:5], v[4:5], v[158:159]
	v_mul_f64 v[158:159], v[70:71], s[28:29]
	v_fma_f64 v[6:7], v[68:69], s[24:25], -v[158:159]
	v_add_f64 v[6:7], v[6:7], v[128:129]
	v_mul_f64 v[128:129], v[96:97], s[6:7]
	v_fma_f64 v[54:55], v[90:91], s[8:9], v[128:129]
	v_fma_f64 v[128:129], v[90:91], s[10:11], v[128:129]
	v_add_f64 v[4:5], v[54:55], v[4:5]
	v_fma_f64 v[54:55], v[94:95], s[6:7], -v[204:205]
	v_add_f64 v[6:7], v[54:55], v[6:7]
	v_fma_f64 v[54:55], v[88:89], s[18:19], v[206:207]
	v_add_f64 v[4:5], v[54:55], v[4:5]
	v_fma_f64 v[54:55], v[92:93], s[14:15], -v[208:209]
	v_add_f64 v[6:7], v[54:55], v[6:7]
	v_fma_f64 v[54:55], v[86:87], s[36:37], v[210:211]
	v_add_f64 v[4:5], v[54:55], v[4:5]
	v_fma_f64 v[54:55], v[72:73], s[30:31], -v[212:213]
	v_add_f64 v[54:55], v[54:55], v[6:7]
	v_fma_f64 v[6:7], v[66:67], s[12:13], v[214:215]
	v_add_f64 v[6:7], v[6:7], v[4:5]
	v_fma_f64 v[4:5], v[62:63], s[0:1], -v[216:217]
	v_add_f64 v[4:5], v[4:5], v[54:55]
	v_fma_f64 v[54:55], v[60:61], s[36:37], v[78:79]
	v_fma_f64 v[78:79], v[60:61], s[34:35], v[78:79]
	v_add_f64 v[54:55], v[54:55], v[156:157]
	v_fma_f64 v[156:157], v[90:91], s[2:3], v[126:127]
	v_add_f64 v[78:79], v[78:79], v[160:161]
	;; [unrolled: 2-line block ×3, first 2 shown]
	v_mul_f64 v[156:157], v[100:101], s[2:3]
	v_add_f64 v[78:79], v[126:127], v[78:79]
	v_fma_f64 v[218:219], v[94:95], s[20:21], -v[156:157]
	v_fma_f64 v[126:127], v[94:95], s[20:21], v[156:157]
	v_add_f64 v[56:57], v[218:219], v[56:57]
	v_mul_f64 v[218:219], v[104:105], s[6:7]
	v_add_f64 v[80:81], v[126:127], v[80:81]
	v_fma_f64 v[220:221], v[88:89], s[10:11], v[218:219]
	v_fma_f64 v[126:127], v[88:89], s[8:9], v[218:219]
	v_add_f64 v[54:55], v[220:221], v[54:55]
	v_mul_f64 v[220:221], v[98:99], s[10:11]
	v_add_f64 v[78:79], v[126:127], v[78:79]
	v_fma_f64 v[222:223], v[92:93], s[6:7], -v[220:221]
	v_fma_f64 v[126:127], v[92:93], s[6:7], v[220:221]
	v_add_f64 v[56:57], v[222:223], v[56:57]
	v_mul_f64 v[222:223], v[102:103], s[0:1]
	v_add_f64 v[80:81], v[126:127], v[80:81]
	v_fma_f64 v[224:225], v[86:87], s[12:13], v[222:223]
	v_fma_f64 v[126:127], v[86:87], s[4:5], v[222:223]
	v_add_f64 v[54:55], v[224:225], v[54:55]
	v_mul_f64 v[224:225], v[84:85], s[12:13]
	v_add_f64 v[78:79], v[126:127], v[78:79]
	v_fma_f64 v[126:127], v[72:73], s[0:1], v[224:225]
	v_fma_f64 v[226:227], v[72:73], s[0:1], -v[224:225]
	v_add_f64 v[126:127], v[126:127], v[80:81]
	v_fma_f64 v[80:81], v[66:67], s[26:27], v[228:229]
	v_add_f64 v[226:227], v[226:227], v[56:57]
	v_fma_f64 v[56:57], v[66:67], s[28:29], v[228:229]
	v_add_f64 v[80:81], v[80:81], v[78:79]
	v_add_f64 v[78:79], v[132:133], v[126:127]
	v_fma_f64 v[126:127], v[60:61], s[26:27], v[202:203]
	v_fma_f64 v[132:133], v[62:63], s[0:1], v[216:217]
	v_add_f64 v[56:57], v[56:57], v[54:55]
	v_fma_f64 v[54:55], v[62:63], s[24:25], -v[230:231]
	v_add_f64 v[8:9], v[126:127], v[8:9]
	v_fma_f64 v[126:127], v[68:69], s[24:25], v[158:159]
	v_add_f64 v[54:55], v[54:55], v[226:227]
	v_add_f64 v[8:9], v[128:129], v[8:9]
	;; [unrolled: 1-line block ×3, first 2 shown]
	v_fma_f64 v[128:129], v[94:95], s[6:7], v[204:205]
	v_add_f64 v[126:127], v[128:129], v[126:127]
	v_fma_f64 v[128:129], v[88:89], s[16:17], v[206:207]
	v_add_f64 v[8:9], v[128:129], v[8:9]
	;; [unrolled: 2-line block ×6, first 2 shown]
	v_add_f64 v[128:129], v[128:129], v[8:9]
	v_fma_f64 v[8:9], v[60:61], s[2:3], v[130:131]
	v_fma_f64 v[130:131], v[68:69], s[20:21], v[184:185]
	;; [unrolled: 1-line block ×3, first 2 shown]
	v_add_f64 v[8:9], v[8:9], v[150:151]
	v_add_f64 v[130:131], v[130:131], v[176:177]
	v_fma_f64 v[150:151], v[62:63], s[6:7], v[200:201]
	v_add_f64 v[8:9], v[132:133], v[8:9]
	v_fma_f64 v[132:133], v[94:95], s[30:31], v[188:189]
	;; [unrolled: 2-line block ×7, first 2 shown]
	v_add_f64 v[130:131], v[150:151], v[130:131]
	v_add_f64 v[132:133], v[132:133], v[8:9]
	v_fma_f64 v[8:9], v[60:61], s[18:19], v[134:135]
	v_fma_f64 v[134:135], v[68:69], s[14:15], v[136:137]
	;; [unrolled: 1-line block ×4, first 2 shown]
	v_add_f64 v[8:9], v[8:9], v[164:165]
	v_add_f64 v[134:135], v[134:135], v[178:179]
	;; [unrolled: 1-line block ×3, first 2 shown]
	v_fma_f64 v[136:137], v[94:95], s[0:1], v[140:141]
	v_add_f64 v[134:135], v[136:137], v[134:135]
	v_fma_f64 v[136:137], v[88:89], s[34:35], v[142:143]
	v_add_f64 v[8:9], v[136:137], v[8:9]
	;; [unrolled: 2-line block ×6, first 2 shown]
	v_add_f64 v[136:137], v[136:137], v[8:9]
	v_fma_f64 v[8:9], v[60:61], s[4:5], v[106:107]
	v_fma_f64 v[106:107], v[68:69], s[0:1], v[108:109]
	;; [unrolled: 1-line block ×4, first 2 shown]
	v_add_f64 v[8:9], v[8:9], v[166:167]
	v_add_f64 v[106:107], v[106:107], v[180:181]
	;; [unrolled: 1-line block ×3, first 2 shown]
	v_fma_f64 v[108:109], v[94:95], s[14:15], v[112:113]
	v_add_f64 v[106:107], v[108:109], v[106:107]
	v_fma_f64 v[108:109], v[88:89], s[2:3], v[114:115]
	v_add_f64 v[8:9], v[108:109], v[8:9]
	;; [unrolled: 2-line block ×6, first 2 shown]
	v_add_f64 v[108:109], v[108:109], v[8:9]
	v_add_f64 v[8:9], v[50:51], v[58:59]
	v_add_f64 v[50:51], v[52:53], v[174:175]
	v_mul_f64 v[52:53], v[70:71], s[8:9]
	v_add_f64 v[8:9], v[46:47], v[8:9]
	v_add_f64 v[46:47], v[48:49], v[50:51]
	v_mul_f64 v[48:49], v[82:83], s[6:7]
	v_fma_f64 v[58:59], v[68:69], s[6:7], -v[52:53]
	v_fma_f64 v[52:53], v[68:69], s[6:7], v[52:53]
	v_add_f64 v[8:9], v[42:43], v[8:9]
	v_add_f64 v[42:43], v[44:45], v[46:47]
	v_fma_f64 v[50:51], v[60:61], s[8:9], v[48:49]
	v_fma_f64 v[48:49], v[60:61], s[10:11], v[48:49]
	v_mul_f64 v[60:61], v[96:97], s[24:25]
	v_mul_f64 v[44:45], v[100:101], s[26:27]
	v_add_f64 v[58:59], v[58:59], v[182:183]
	v_add_f64 v[52:53], v[52:53], v[172:173]
	v_add_f64 v[8:9], v[26:27], v[8:9]
	v_add_f64 v[26:27], v[28:29], v[42:43]
	v_mul_f64 v[28:29], v[104:105], s[0:1]
	v_add_f64 v[48:49], v[48:49], v[162:163]
	v_fma_f64 v[68:69], v[90:91], s[26:27], v[60:61]
	v_fma_f64 v[60:61], v[90:91], s[28:29], v[60:61]
	v_fma_f64 v[46:47], v[94:95], s[24:25], -v[44:45]
	v_add_f64 v[50:51], v[50:51], v[168:169]
	v_fma_f64 v[44:45], v[94:95], s[24:25], v[44:45]
	v_add_f64 v[8:9], v[24:25], v[8:9]
	v_add_f64 v[22:23], v[22:23], v[26:27]
	v_mul_f64 v[24:25], v[98:99], s[12:13]
	v_fma_f64 v[42:43], v[88:89], s[12:13], v[28:29]
	v_fma_f64 v[28:29], v[88:89], s[4:5], v[28:29]
	v_add_f64 v[48:49], v[60:61], v[48:49]
	v_add_f64 v[46:47], v[46:47], v[58:59]
	;; [unrolled: 1-line block ×6, first 2 shown]
	v_fma_f64 v[26:27], v[92:93], s[0:1], -v[24:25]
	v_mul_f64 v[20:21], v[102:103], s[20:21]
	v_fma_f64 v[24:25], v[92:93], s[0:1], v[24:25]
	v_add_f64 v[42:43], v[42:43], v[50:51]
	v_add_f64 v[8:9], v[30:31], v[8:9]
	;; [unrolled: 1-line block ×3, first 2 shown]
	v_mul_f64 v[30:31], v[84:85], s[2:3]
	v_add_f64 v[26:27], v[26:27], v[46:47]
	v_fma_f64 v[22:23], v[86:87], s[2:3], v[20:21]
	v_fma_f64 v[20:21], v[86:87], s[22:23], v[20:21]
	v_add_f64 v[24:25], v[24:25], v[44:45]
	v_add_f64 v[8:9], v[18:19], v[8:9]
	;; [unrolled: 1-line block ×3, first 2 shown]
	v_mul_f64 v[16:17], v[74:75], s[14:15]
	v_fma_f64 v[32:33], v[72:73], s[20:21], -v[30:31]
	v_fma_f64 v[30:31], v[72:73], s[20:21], v[30:31]
	v_add_f64 v[22:23], v[22:23], v[42:43]
	v_add_f64 v[8:9], v[34:35], v[8:9]
	;; [unrolled: 1-line block ×3, first 2 shown]
	v_fma_f64 v[18:19], v[66:67], s[16:17], v[16:17]
	v_fma_f64 v[46:47], v[66:67], s[18:19], v[16:17]
	v_add_f64 v[16:17], v[28:29], v[48:49]
	v_mul_f64 v[28:29], v[64:65], s[16:17]
	v_add_f64 v[26:27], v[32:33], v[26:27]
	v_add_f64 v[24:25], v[30:31], v[24:25]
	v_add_co_u32 v34, vcc_lo, 0x1800, v76
	v_add_co_ci_u32_e32 v35, vcc_lo, 0, v77, vcc_lo
	global_store_dwordx4 v[34:35], v[0:3], off offset:1344
	v_add_f64 v[8:9], v[38:39], v[8:9]
	v_add_f64 v[30:31], v[40:41], v[12:13]
	;; [unrolled: 1-line block ×4, first 2 shown]
	v_fma_f64 v[32:33], v[62:63], s[14:15], -v[28:29]
	v_fma_f64 v[28:29], v[62:63], s[14:15], v[28:29]
	v_add_f64 v[12:13], v[14:15], v[8:9]
	v_add_f64 v[10:11], v[10:11], v[30:31]
	v_add_f64 v[22:23], v[46:47], v[20:21]
	v_add_f64 v[16:17], v[32:33], v[26:27]
	v_add_co_u32 v26, vcc_lo, 0x2000, v76
	v_add_co_ci_u32_e32 v27, vcc_lo, 0, v77, vcc_lo
	v_add_co_u32 v32, vcc_lo, 0x2800, v76
	v_add_co_ci_u32_e32 v33, vcc_lo, 0, v77, vcc_lo
	v_add_f64 v[20:21], v[28:29], v[24:25]
	v_add_co_u32 v24, vcc_lo, 0x3000, v76
	v_add_co_ci_u32_e32 v25, vcc_lo, 0, v77, vcc_lo
	v_add_co_u32 v28, vcc_lo, 0x3800, v76
	v_add_co_ci_u32_e32 v29, vcc_lo, 0, v77, vcc_lo
	;; [unrolled: 2-line block ×5, first 2 shown]
	global_store_dwordx4 v[26:27], v[4:7], off offset:1168
	global_store_dwordx4 v[32:33], v[54:57], off offset:992
	;; [unrolled: 1-line block ×8, first 2 shown]
	global_store_dwordx4 v[76:77], v[10:13], off
	global_store_dwordx4 v[0:1], v[20:23], off offset:1984
.LBB0_31:
	s_endpgm
	.section	.rodata,"a",@progbits
	.p2align	6, 0x0
	.amdhsa_kernel fft_rtc_fwd_len1521_factors_13_3_3_13_wgs_117_tpt_117_halfLds_dp_op_CI_CI_unitstride_sbrr_dirReg
		.amdhsa_group_segment_fixed_size 0
		.amdhsa_private_segment_fixed_size 0
		.amdhsa_kernarg_size 104
		.amdhsa_user_sgpr_count 6
		.amdhsa_user_sgpr_private_segment_buffer 1
		.amdhsa_user_sgpr_dispatch_ptr 0
		.amdhsa_user_sgpr_queue_ptr 0
		.amdhsa_user_sgpr_kernarg_segment_ptr 1
		.amdhsa_user_sgpr_dispatch_id 0
		.amdhsa_user_sgpr_flat_scratch_init 0
		.amdhsa_user_sgpr_private_segment_size 0
		.amdhsa_wavefront_size32 1
		.amdhsa_uses_dynamic_stack 0
		.amdhsa_system_sgpr_private_segment_wavefront_offset 0
		.amdhsa_system_sgpr_workgroup_id_x 1
		.amdhsa_system_sgpr_workgroup_id_y 0
		.amdhsa_system_sgpr_workgroup_id_z 0
		.amdhsa_system_sgpr_workgroup_info 0
		.amdhsa_system_vgpr_workitem_id 0
		.amdhsa_next_free_vgpr 232
		.amdhsa_next_free_sgpr 46
		.amdhsa_reserve_vcc 1
		.amdhsa_reserve_flat_scratch 0
		.amdhsa_float_round_mode_32 0
		.amdhsa_float_round_mode_16_64 0
		.amdhsa_float_denorm_mode_32 3
		.amdhsa_float_denorm_mode_16_64 3
		.amdhsa_dx10_clamp 1
		.amdhsa_ieee_mode 1
		.amdhsa_fp16_overflow 0
		.amdhsa_workgroup_processor_mode 1
		.amdhsa_memory_ordered 1
		.amdhsa_forward_progress 0
		.amdhsa_shared_vgpr_count 0
		.amdhsa_exception_fp_ieee_invalid_op 0
		.amdhsa_exception_fp_denorm_src 0
		.amdhsa_exception_fp_ieee_div_zero 0
		.amdhsa_exception_fp_ieee_overflow 0
		.amdhsa_exception_fp_ieee_underflow 0
		.amdhsa_exception_fp_ieee_inexact 0
		.amdhsa_exception_int_div_zero 0
	.end_amdhsa_kernel
	.text
.Lfunc_end0:
	.size	fft_rtc_fwd_len1521_factors_13_3_3_13_wgs_117_tpt_117_halfLds_dp_op_CI_CI_unitstride_sbrr_dirReg, .Lfunc_end0-fft_rtc_fwd_len1521_factors_13_3_3_13_wgs_117_tpt_117_halfLds_dp_op_CI_CI_unitstride_sbrr_dirReg
                                        ; -- End function
	.section	.AMDGPU.csdata,"",@progbits
; Kernel info:
; codeLenInByte = 14024
; NumSgprs: 48
; NumVgprs: 232
; ScratchSize: 0
; MemoryBound: 1
; FloatMode: 240
; IeeeMode: 1
; LDSByteSize: 0 bytes/workgroup (compile time only)
; SGPRBlocks: 5
; VGPRBlocks: 28
; NumSGPRsForWavesPerEU: 48
; NumVGPRsForWavesPerEU: 232
; Occupancy: 4
; WaveLimiterHint : 1
; COMPUTE_PGM_RSRC2:SCRATCH_EN: 0
; COMPUTE_PGM_RSRC2:USER_SGPR: 6
; COMPUTE_PGM_RSRC2:TRAP_HANDLER: 0
; COMPUTE_PGM_RSRC2:TGID_X_EN: 1
; COMPUTE_PGM_RSRC2:TGID_Y_EN: 0
; COMPUTE_PGM_RSRC2:TGID_Z_EN: 0
; COMPUTE_PGM_RSRC2:TIDIG_COMP_CNT: 0
	.text
	.p2alignl 6, 3214868480
	.fill 48, 4, 3214868480
	.type	__hip_cuid_22ed8951e7b7efdb,@object ; @__hip_cuid_22ed8951e7b7efdb
	.section	.bss,"aw",@nobits
	.globl	__hip_cuid_22ed8951e7b7efdb
__hip_cuid_22ed8951e7b7efdb:
	.byte	0                               ; 0x0
	.size	__hip_cuid_22ed8951e7b7efdb, 1

	.ident	"AMD clang version 19.0.0git (https://github.com/RadeonOpenCompute/llvm-project roc-6.4.0 25133 c7fe45cf4b819c5991fe208aaa96edf142730f1d)"
	.section	".note.GNU-stack","",@progbits
	.addrsig
	.addrsig_sym __hip_cuid_22ed8951e7b7efdb
	.amdgpu_metadata
---
amdhsa.kernels:
  - .args:
      - .actual_access:  read_only
        .address_space:  global
        .offset:         0
        .size:           8
        .value_kind:     global_buffer
      - .offset:         8
        .size:           8
        .value_kind:     by_value
      - .actual_access:  read_only
        .address_space:  global
        .offset:         16
        .size:           8
        .value_kind:     global_buffer
      - .actual_access:  read_only
        .address_space:  global
        .offset:         24
        .size:           8
        .value_kind:     global_buffer
      - .actual_access:  read_only
        .address_space:  global
        .offset:         32
        .size:           8
        .value_kind:     global_buffer
      - .offset:         40
        .size:           8
        .value_kind:     by_value
      - .actual_access:  read_only
        .address_space:  global
        .offset:         48
        .size:           8
        .value_kind:     global_buffer
      - .actual_access:  read_only
        .address_space:  global
        .offset:         56
        .size:           8
        .value_kind:     global_buffer
      - .offset:         64
        .size:           4
        .value_kind:     by_value
      - .actual_access:  read_only
        .address_space:  global
        .offset:         72
        .size:           8
        .value_kind:     global_buffer
      - .actual_access:  read_only
        .address_space:  global
        .offset:         80
        .size:           8
        .value_kind:     global_buffer
      - .actual_access:  read_only
        .address_space:  global
        .offset:         88
        .size:           8
        .value_kind:     global_buffer
      - .actual_access:  write_only
        .address_space:  global
        .offset:         96
        .size:           8
        .value_kind:     global_buffer
    .group_segment_fixed_size: 0
    .kernarg_segment_align: 8
    .kernarg_segment_size: 104
    .language:       OpenCL C
    .language_version:
      - 2
      - 0
    .max_flat_workgroup_size: 117
    .name:           fft_rtc_fwd_len1521_factors_13_3_3_13_wgs_117_tpt_117_halfLds_dp_op_CI_CI_unitstride_sbrr_dirReg
    .private_segment_fixed_size: 0
    .sgpr_count:     48
    .sgpr_spill_count: 0
    .symbol:         fft_rtc_fwd_len1521_factors_13_3_3_13_wgs_117_tpt_117_halfLds_dp_op_CI_CI_unitstride_sbrr_dirReg.kd
    .uniform_work_group_size: 1
    .uses_dynamic_stack: false
    .vgpr_count:     232
    .vgpr_spill_count: 0
    .wavefront_size: 32
    .workgroup_processor_mode: 1
amdhsa.target:   amdgcn-amd-amdhsa--gfx1030
amdhsa.version:
  - 1
  - 2
...

	.end_amdgpu_metadata
